;; amdgpu-corpus repo=ggml-org/llama.cpp kind=compiled arch=gfx90a opt=O3
	.text
	.amdgcn_target "amdgcn-amd-amdhsa--gfx90a"
	.amdhsa_code_object_version 6
	.section	.text._Z18ssm_scan_f32_groupILi4ELi128EEvPKfS1_S1_S1_S1_S1_PKiPfiiiiiiiiiiilllll,"axG",@progbits,_Z18ssm_scan_f32_groupILi4ELi128EEvPKfS1_S1_S1_S1_S1_PKiPfiiiiiiiiiiilllll,comdat
	.protected	_Z18ssm_scan_f32_groupILi4ELi128EEvPKfS1_S1_S1_S1_S1_PKiPfiiiiiiiiiiilllll ; -- Begin function _Z18ssm_scan_f32_groupILi4ELi128EEvPKfS1_S1_S1_S1_S1_PKiPfiiiiiiiiiiilllll
	.globl	_Z18ssm_scan_f32_groupILi4ELi128EEvPKfS1_S1_S1_S1_S1_PKiPfiiiiiiiiiiilllll
	.p2align	8
	.type	_Z18ssm_scan_f32_groupILi4ELi128EEvPKfS1_S1_S1_S1_S1_PKiPfiiiiiiiiiiilllll,@function
_Z18ssm_scan_f32_groupILi4ELi128EEvPKfS1_S1_S1_S1_S1_PKiPfiiiiiiiiiiilllll: ; @_Z18ssm_scan_f32_groupILi4ELi128EEvPKfS1_S1_S1_S1_S1_PKiPfiiiiiiiiiiilllll
; %bb.0:
	s_load_dwordx8 s[24:31], s[4:5], 0x70
	s_load_dwordx2 s[44:45], s[4:5], 0x90
	v_lshrrev_b32_e32 v1, 5, v0
	v_lshl_or_b32 v4, s6, 2, v1
	v_ashrrev_i32_e32 v5, 31, v4
	s_waitcnt lgkmcnt(0)
	v_or_b32_e32 v3, s29, v5
	v_mov_b32_e32 v2, 0
	s_mov_b32 s34, s7
	v_cmp_ne_u64_e32 vcc, 0, v[2:3]
                                        ; implicit-def: $vgpr6_vgpr7
	s_and_saveexec_b64 s[0:1], vcc
	s_xor_b64 s[2:3], exec, s[0:1]
	s_cbranch_execz .LBB0_2
; %bb.1:
	s_ashr_i32 s6, s29, 31
	s_add_u32 s0, s28, s6
	s_mov_b32 s7, s6
	s_addc_u32 s1, s29, s6
	s_xor_b64 s[8:9], s[0:1], s[6:7]
	v_cvt_f32_u32_e32 v1, s8
	v_cvt_f32_u32_e32 v2, s9
	s_sub_u32 s0, 0, s8
	s_subb_u32 s1, 0, s9
	v_madmk_f32 v1, v2, 0x4f800000, v1
	v_rcp_f32_e32 v1, v1
	v_mul_f32_e32 v1, 0x5f7ffffc, v1
	v_mul_f32_e32 v2, 0x2f800000, v1
	v_trunc_f32_e32 v2, v2
	v_madmk_f32 v1, v2, 0xcf800000, v1
	v_cvt_u32_f32_e32 v2, v2
	v_cvt_u32_f32_e32 v1, v1
	v_mul_lo_u32 v3, s0, v2
	v_mul_hi_u32 v7, s0, v1
	v_mul_lo_u32 v6, s1, v1
	v_add_u32_e32 v3, v7, v3
	v_mul_lo_u32 v8, s0, v1
	v_add_u32_e32 v3, v3, v6
	v_mul_lo_u32 v7, v1, v3
	v_mul_hi_u32 v9, v1, v8
	v_mul_hi_u32 v6, v1, v3
	v_add_co_u32_e32 v7, vcc, v9, v7
	v_addc_co_u32_e32 v6, vcc, 0, v6, vcc
	v_mul_hi_u32 v10, v2, v8
	v_mul_lo_u32 v8, v2, v8
	v_add_co_u32_e32 v7, vcc, v7, v8
	v_mul_hi_u32 v9, v2, v3
	v_addc_co_u32_e32 v6, vcc, v6, v10, vcc
	v_addc_co_u32_e32 v7, vcc, 0, v9, vcc
	v_mul_lo_u32 v3, v2, v3
	v_add_co_u32_e32 v3, vcc, v6, v3
	v_addc_co_u32_e32 v6, vcc, 0, v7, vcc
	v_add_co_u32_e32 v1, vcc, v1, v3
	v_addc_co_u32_e32 v2, vcc, v2, v6, vcc
	v_mul_lo_u32 v3, s0, v2
	v_mul_hi_u32 v6, s0, v1
	v_add_u32_e32 v3, v6, v3
	v_mul_lo_u32 v6, s1, v1
	v_add_u32_e32 v3, v3, v6
	v_mul_lo_u32 v7, s0, v1
	v_mul_hi_u32 v8, v2, v7
	v_mul_lo_u32 v9, v2, v7
	v_mul_lo_u32 v11, v1, v3
	v_mul_hi_u32 v7, v1, v7
	v_mul_hi_u32 v10, v1, v3
	v_add_co_u32_e32 v7, vcc, v7, v11
	v_addc_co_u32_e32 v10, vcc, 0, v10, vcc
	v_add_co_u32_e32 v7, vcc, v7, v9
	v_mul_hi_u32 v6, v2, v3
	v_addc_co_u32_e32 v7, vcc, v10, v8, vcc
	v_addc_co_u32_e32 v6, vcc, 0, v6, vcc
	v_mul_lo_u32 v3, v2, v3
	v_add_co_u32_e32 v3, vcc, v7, v3
	v_addc_co_u32_e32 v6, vcc, 0, v6, vcc
	v_add_co_u32_e32 v3, vcc, v1, v3
	v_addc_co_u32_e32 v8, vcc, v2, v6, vcc
	v_mov_b32_e32 v2, v5
	v_mov_b32_e32 v1, v5
	v_add_co_u32_e32 v6, vcc, v4, v2
	v_addc_co_u32_e32 v7, vcc, v5, v1, vcc
	v_xor_b32_e32 v10, v6, v2
	v_xor_b32_e32 v1, v7, v1
	v_mad_u64_u32 v[6:7], s[0:1], v10, v8, 0
	v_mul_hi_u32 v9, v10, v3
	v_add_co_u32_e32 v11, vcc, v9, v6
	v_addc_co_u32_e32 v12, vcc, 0, v7, vcc
	v_mad_u64_u32 v[6:7], s[0:1], v1, v8, 0
	v_mad_u64_u32 v[8:9], s[0:1], v1, v3, 0
	v_add_co_u32_e32 v3, vcc, v11, v8
	v_addc_co_u32_e32 v3, vcc, v12, v9, vcc
	v_addc_co_u32_e32 v7, vcc, 0, v7, vcc
	v_add_co_u32_e32 v3, vcc, v3, v6
	v_addc_co_u32_e32 v6, vcc, 0, v7, vcc
	v_mul_lo_u32 v8, s9, v3
	v_mul_lo_u32 v9, s8, v6
	v_mad_u64_u32 v[6:7], s[0:1], s8, v3, 0
	v_add3_u32 v7, v7, v9, v8
	v_sub_u32_e32 v8, v1, v7
	v_mov_b32_e32 v9, s9
	v_sub_co_u32_e32 v6, vcc, v10, v6
	v_subb_co_u32_e64 v8, s[0:1], v8, v9, vcc
	v_subrev_co_u32_e64 v9, s[0:1], s8, v6
	v_subbrev_co_u32_e64 v8, s[0:1], 0, v8, s[0:1]
	v_cmp_le_u32_e64 s[0:1], s9, v8
	v_subb_co_u32_e32 v1, vcc, v1, v7, vcc
	v_cndmask_b32_e64 v10, 0, -1, s[0:1]
	v_cmp_le_u32_e64 s[0:1], s8, v9
	v_cmp_le_u32_e32 vcc, s9, v1
	v_cndmask_b32_e64 v9, 0, -1, s[0:1]
	v_cmp_eq_u32_e64 s[0:1], s9, v8
	v_cndmask_b32_e64 v7, 0, -1, vcc
	v_cmp_le_u32_e32 vcc, s8, v6
	v_cndmask_b32_e64 v8, v10, v9, s[0:1]
	v_cndmask_b32_e64 v6, 0, -1, vcc
	v_cmp_eq_u32_e32 vcc, s9, v1
	v_add_co_u32_e64 v9, s[0:1], 2, v3
	v_add_co_u32_e64 v10, s[0:1], 1, v3
	v_cndmask_b32_e32 v1, v7, v6, vcc
	v_cmp_ne_u32_e32 vcc, 0, v8
	v_cndmask_b32_e32 v6, v10, v9, vcc
	v_cmp_ne_u32_e32 vcc, 0, v1
	v_cndmask_b32_e32 v1, v3, v6, vcc
	v_xor_b32_e32 v2, s6, v2
	v_xor_b32_e32 v1, v1, v2
	v_sub_co_u32_e32 v6, vcc, v1, v2
.LBB0_2:
	s_andn2_saveexec_b64 s[0:1], s[2:3]
	s_cbranch_execz .LBB0_4
; %bb.3:
	v_cvt_f32_u32_e32 v1, s28
	s_sub_i32 s2, 0, s28
	v_rcp_iflag_f32_e32 v1, v1
	v_mul_f32_e32 v1, 0x4f7ffffe, v1
	v_cvt_u32_f32_e32 v1, v1
	v_mul_lo_u32 v2, s2, v1
	v_mul_hi_u32 v2, v1, v2
	v_add_u32_e32 v1, v1, v2
	v_mul_hi_u32 v1, v4, v1
	v_mul_lo_u32 v2, v1, s28
	v_sub_u32_e32 v2, v4, v2
	v_add_u32_e32 v3, 1, v1
	v_subrev_u32_e32 v6, s28, v2
	v_cmp_le_u32_e32 vcc, s28, v2
	v_cndmask_b32_e32 v2, v2, v6, vcc
	v_cndmask_b32_e32 v1, v1, v3, vcc
	v_add_u32_e32 v3, 1, v1
	v_cmp_le_u32_e32 vcc, s28, v2
	v_cndmask_b32_e32 v6, v1, v3, vcc
.LBB0_4:
	s_or_b64 exec, exec, s[0:1]
	s_load_dwordx16 s[8:23], s[4:5], 0x0
	s_load_dwordx8 s[36:43], s[4:5], 0x40
	s_ashr_i32 s35, s34, 31
	s_lshl_b64 s[0:1], s[34:35], 2
	v_and_b32_e32 v14, 31, v0
	s_waitcnt lgkmcnt(0)
	s_add_u32 s0, s20, s0
	s_addc_u32 s1, s21, s1
	s_load_dword s0, s[0:1], 0x0
	v_mul_lo_u32 v0, v6, s28
	v_sub_u32_e32 v2, v4, v0
	v_mul_lo_u32 v0, v6, s36
	v_ashrrev_i32_e32 v1, 31, v0
	s_waitcnt lgkmcnt(0)
	s_mul_i32 s0, s0, s37
	s_ashr_i32 s1, s0, 31
	s_add_u32 s0, s8, s0
	s_addc_u32 s1, s9, s1
	v_mov_b32_e32 v3, s1
	v_add_co_u32_e32 v7, vcc, s0, v0
	v_addc_co_u32_e32 v8, vcc, v3, v1, vcc
	v_lshlrev_b32_e32 v2, 9, v2
	v_ashrrev_i32_e32 v3, 31, v2
	v_add_co_u32_e32 v7, vcc, v7, v2
	v_addc_co_u32_e32 v9, vcc, v8, v3, vcc
	v_lshlrev_b32_e32 v20, 2, v14
	v_add_co_u32_e32 v8, vcc, v7, v20
	v_addc_co_u32_e32 v9, vcc, 0, v9, vcc
	global_load_dword v21, v[8:9], off
	global_load_dword v22, v[8:9], off offset:128
	global_load_dword v24, v[8:9], off offset:256
	;; [unrolled: 1-line block ×3, first 2 shown]
	v_cmp_lt_i64_e64 s[2:3], s[44:45], 1
	s_mov_b32 s0, 0
	s_and_b64 vcc, exec, s[2:3]
	s_cbranch_vccnz .LBB0_18
; %bb.5:
	s_or_b64 s[2:3], s[26:27], s[30:31]
	s_mov_b32 s1, s3
	s_cmp_lg_u64 s[0:1], 0
	s_cbranch_scc0 .LBB0_20
; %bb.6:
	s_ashr_i32 s2, s31, 31
	s_add_u32 s0, s30, s2
	s_mov_b32 s3, s2
	s_addc_u32 s1, s31, s2
	s_xor_b64 s[6:7], s[0:1], s[2:3]
	v_cvt_f32_u32_e32 v7, s6
	v_cvt_f32_u32_e32 v8, s7
	s_sub_u32 s0, 0, s6
	s_subb_u32 s1, 0, s7
	v_madmk_f32 v7, v8, 0x4f800000, v7
	v_rcp_f32_e32 v7, v7
	v_mul_f32_e32 v7, 0x5f7ffffc, v7
	v_mul_f32_e32 v8, 0x2f800000, v7
	v_trunc_f32_e32 v8, v8
	v_madmk_f32 v7, v8, 0xcf800000, v7
	v_cvt_u32_f32_e32 v8, v8
	v_cvt_u32_f32_e32 v7, v7
	v_readfirstlane_b32 s20, v8
	v_readfirstlane_b32 s21, v7
	s_mul_i32 s31, s0, s20
	s_mul_hi_u32 s36, s0, s21
	s_mul_i32 s33, s1, s21
	s_add_i32 s31, s36, s31
	s_add_i32 s31, s31, s33
	s_mul_i32 s46, s0, s21
	s_mul_hi_u32 s33, s21, s31
	s_mul_i32 s36, s21, s31
	s_mul_hi_u32 s21, s21, s46
	s_add_u32 s21, s21, s36
	s_addc_u32 s33, 0, s33
	s_mul_hi_u32 s47, s20, s46
	s_mul_i32 s46, s20, s46
	s_add_u32 s21, s21, s46
	s_mul_hi_u32 s36, s20, s31
	s_addc_u32 s21, s33, s47
	s_addc_u32 s33, s36, 0
	s_mul_i32 s31, s20, s31
	s_add_u32 s21, s21, s31
	s_addc_u32 s31, 0, s33
	v_add_co_u32_e32 v7, vcc, s21, v7
	s_cmp_lg_u64 vcc, 0
	s_addc_u32 s20, s20, s31
	v_readfirstlane_b32 s31, v7
	s_mul_i32 s21, s0, s20
	s_mul_hi_u32 s33, s0, s31
	s_add_i32 s21, s33, s21
	s_mul_i32 s1, s1, s31
	s_add_i32 s21, s21, s1
	s_mul_i32 s0, s0, s31
	s_mul_hi_u32 s33, s20, s0
	s_mul_i32 s36, s20, s0
	s_mul_i32 s47, s31, s21
	s_mul_hi_u32 s0, s31, s0
	s_mul_hi_u32 s46, s31, s21
	s_add_u32 s0, s0, s47
	s_addc_u32 s31, 0, s46
	s_add_u32 s0, s0, s36
	s_mul_hi_u32 s1, s20, s21
	s_addc_u32 s0, s31, s33
	s_addc_u32 s1, s1, 0
	s_mul_i32 s21, s20, s21
	s_add_u32 s0, s0, s21
	s_addc_u32 s1, 0, s1
	v_add_co_u32_e32 v7, vcc, s0, v7
	s_cmp_lg_u64 vcc, 0
	s_addc_u32 s31, s20, s1
	s_ashr_i32 s20, s27, 31
	s_add_u32 s0, s26, s20
	s_mov_b32 s21, s20
	s_addc_u32 s1, s27, s20
	s_xor_b64 s[46:47], s[0:1], s[20:21]
	v_readfirstlane_b32 s33, v7
	s_mul_i32 s1, s46, s31
	s_mul_hi_u32 s36, s46, s33
	s_mul_hi_u32 s0, s46, s31
	s_add_u32 s1, s36, s1
	s_addc_u32 s0, 0, s0
	s_mul_hi_u32 s48, s47, s33
	s_mul_i32 s33, s47, s33
	s_add_u32 s1, s1, s33
	s_mul_hi_u32 s36, s47, s31
	s_addc_u32 s0, s0, s48
	s_addc_u32 s1, s36, 0
	s_mul_i32 s31, s47, s31
	s_add_u32 s31, s0, s31
	s_addc_u32 s33, 0, s1
	s_mul_i32 s0, s6, s33
	s_mul_hi_u32 s1, s6, s31
	s_add_i32 s0, s1, s0
	s_mul_i32 s1, s7, s31
	s_add_i32 s36, s0, s1
	s_mul_i32 s1, s6, s31
	v_mov_b32_e32 v7, s1
	s_sub_i32 s0, s47, s36
	v_sub_co_u32_e32 v7, vcc, s46, v7
	s_cmp_lg_u64 vcc, 0
	s_subb_u32 s46, s0, s7
	v_subrev_co_u32_e64 v8, s[0:1], s6, v7
	s_cmp_lg_u64 s[0:1], 0
	s_subb_u32 s0, s46, 0
	s_cmp_ge_u32 s0, s7
	v_readfirstlane_b32 s46, v8
	s_cselect_b32 s1, -1, 0
	s_cmp_ge_u32 s46, s6
	s_cselect_b32 s46, -1, 0
	s_cmp_eq_u32 s0, s7
	s_cselect_b32 s0, s46, s1
	s_add_u32 s1, s31, 1
	s_addc_u32 s46, s33, 0
	s_add_u32 s48, s31, 2
	s_addc_u32 s49, s33, 0
	s_cmp_lg_u32 s0, 0
	s_cselect_b32 s0, s48, s1
	s_cselect_b32 s1, s49, s46
	s_cmp_lg_u64 vcc, 0
	s_subb_u32 s36, s47, s36
	s_cmp_ge_u32 s36, s7
	v_readfirstlane_b32 s47, v7
	s_cselect_b32 s46, -1, 0
	s_cmp_ge_u32 s47, s6
	s_cselect_b32 s6, -1, 0
	s_cmp_eq_u32 s36, s7
	s_cselect_b32 s6, s6, s46
	s_cmp_lg_u32 s6, 0
	s_cselect_b32 s1, s1, s33
	s_cselect_b32 s0, s0, s31
	s_xor_b64 s[2:3], s[20:21], s[2:3]
	s_xor_b64 s[0:1], s[0:1], s[2:3]
	s_sub_u32 s2, s0, s2
	s_subb_u32 s3, s1, s3
	s_load_dwordx4 s[4:7], s[4:5], 0x60
	s_cbranch_execnz .LBB0_8
.LBB0_7:
	v_cvt_f32_u32_e32 v7, s30
	s_sub_i32 s0, 0, s30
	s_mov_b32 s3, 0
	v_rcp_iflag_f32_e32 v7, v7
	v_mul_f32_e32 v7, 0x4f7ffffe, v7
	v_cvt_u32_f32_e32 v7, v7
	v_readfirstlane_b32 s1, v7
	s_mul_i32 s0, s0, s1
	s_mul_hi_u32 s0, s1, s0
	s_add_i32 s1, s1, s0
	s_mul_hi_u32 s0, s26, s1
	s_mul_i32 s2, s0, s30
	s_sub_i32 s2, s26, s2
	s_add_i32 s1, s0, 1
	s_waitcnt lgkmcnt(0)
	s_sub_i32 s7, s2, s30
	s_cmp_ge_u32 s2, s30
	s_cselect_b32 s0, s1, s0
	s_cselect_b32 s2, s7, s2
	s_add_i32 s1, s0, 1
	s_cmp_ge_u32 s2, s30
	s_cselect_b32 s2, s1, s0
.LBB0_8:
	v_ashrrev_i32_e32 v7, 31, v6
	v_mov_b32_e32 v8, 0
	v_or_b32_e32 v9, s3, v7
	v_cmp_ne_u64_e32 vcc, 0, v[8:9]
                                        ; implicit-def: $vgpr12_vgpr13
	s_and_saveexec_b64 s[0:1], vcc
	s_xor_b64 s[8:9], exec, s[0:1]
	s_cbranch_execz .LBB0_10
; %bb.9:
	s_ashr_i32 s20, s3, 31
	s_add_u32 s0, s2, s20
	s_mov_b32 s21, s20
	s_addc_u32 s1, s3, s20
	s_xor_b64 s[30:31], s[0:1], s[20:21]
	v_cvt_f32_u32_e32 v9, s30
	v_cvt_f32_u32_e32 v10, s31
	s_sub_u32 s0, 0, s30
	s_subb_u32 s1, 0, s31
	v_madmk_f32 v9, v10, 0x4f800000, v9
	v_rcp_f32_e32 v9, v9
	v_mul_f32_e32 v9, 0x5f7ffffc, v9
	v_mul_f32_e32 v10, 0x2f800000, v9
	v_trunc_f32_e32 v10, v10
	v_madmk_f32 v9, v10, 0xcf800000, v9
	v_cvt_u32_f32_e32 v10, v10
	v_cvt_u32_f32_e32 v9, v9
	v_mul_lo_u32 v11, s0, v10
	v_mul_hi_u32 v13, s0, v9
	v_mul_lo_u32 v12, s1, v9
	v_add_u32_e32 v11, v13, v11
	v_mul_lo_u32 v15, s0, v9
	v_add_u32_e32 v11, v11, v12
	v_mul_lo_u32 v13, v9, v11
	v_mul_hi_u32 v16, v9, v15
	v_mul_hi_u32 v12, v9, v11
	v_add_co_u32_e32 v13, vcc, v16, v13
	v_addc_co_u32_e32 v12, vcc, 0, v12, vcc
	v_mul_hi_u32 v17, v10, v15
	v_mul_lo_u32 v15, v10, v15
	v_add_co_u32_e32 v13, vcc, v13, v15
	v_mul_hi_u32 v16, v10, v11
	v_addc_co_u32_e32 v12, vcc, v12, v17, vcc
	v_addc_co_u32_e32 v13, vcc, 0, v16, vcc
	v_mul_lo_u32 v11, v10, v11
	v_add_co_u32_e32 v11, vcc, v12, v11
	v_addc_co_u32_e32 v12, vcc, 0, v13, vcc
	v_add_co_u32_e32 v9, vcc, v9, v11
	v_addc_co_u32_e32 v10, vcc, v10, v12, vcc
	v_mul_lo_u32 v11, s0, v10
	v_mul_hi_u32 v12, s0, v9
	v_add_u32_e32 v11, v12, v11
	v_mul_lo_u32 v12, s1, v9
	v_add_u32_e32 v11, v11, v12
	v_mul_lo_u32 v13, s0, v9
	v_mul_hi_u32 v15, v10, v13
	v_mul_lo_u32 v16, v10, v13
	v_mul_lo_u32 v18, v9, v11
	v_mul_hi_u32 v13, v9, v13
	v_mul_hi_u32 v17, v9, v11
	v_add_co_u32_e32 v13, vcc, v13, v18
	v_addc_co_u32_e32 v17, vcc, 0, v17, vcc
	v_add_co_u32_e32 v13, vcc, v13, v16
	v_mul_hi_u32 v12, v10, v11
	v_addc_co_u32_e32 v13, vcc, v17, v15, vcc
	v_addc_co_u32_e32 v12, vcc, 0, v12, vcc
	v_mul_lo_u32 v11, v10, v11
	v_add_co_u32_e32 v11, vcc, v13, v11
	v_addc_co_u32_e32 v12, vcc, 0, v12, vcc
	v_add_co_u32_e32 v11, vcc, v9, v11
	v_addc_co_u32_e32 v15, vcc, v10, v12, vcc
	v_mov_b32_e32 v10, v7
	v_mov_b32_e32 v9, v7
	v_add_co_u32_e32 v12, vcc, v6, v10
	v_addc_co_u32_e32 v7, vcc, v7, v9, vcc
	v_xor_b32_e32 v7, v7, v9
	v_xor_b32_e32 v9, v12, v10
	v_mad_u64_u32 v[12:13], s[0:1], v9, v15, 0
	v_mul_hi_u32 v16, v9, v11
	v_add_co_u32_e32 v18, vcc, v16, v12
	v_addc_co_u32_e32 v19, vcc, 0, v13, vcc
	v_mad_u64_u32 v[16:17], s[0:1], v7, v11, 0
	v_add_co_u32_e32 v11, vcc, v18, v16
	v_mad_u64_u32 v[12:13], s[0:1], v7, v15, 0
	v_addc_co_u32_e32 v11, vcc, v19, v17, vcc
	v_addc_co_u32_e32 v13, vcc, 0, v13, vcc
	v_add_co_u32_e32 v11, vcc, v11, v12
	v_addc_co_u32_e32 v12, vcc, 0, v13, vcc
	v_mul_lo_u32 v15, s31, v11
	v_mul_lo_u32 v16, s30, v12
	v_mad_u64_u32 v[12:13], s[0:1], s30, v11, 0
	v_add3_u32 v13, v13, v16, v15
	v_sub_u32_e32 v15, v7, v13
	v_mov_b32_e32 v16, s31
	v_sub_co_u32_e32 v9, vcc, v9, v12
	v_subb_co_u32_e64 v12, s[0:1], v15, v16, vcc
	v_subrev_co_u32_e64 v15, s[0:1], s30, v9
	v_subbrev_co_u32_e64 v12, s[0:1], 0, v12, s[0:1]
	v_cmp_le_u32_e64 s[0:1], s31, v12
	v_subb_co_u32_e32 v7, vcc, v7, v13, vcc
	v_cndmask_b32_e64 v16, 0, -1, s[0:1]
	v_cmp_le_u32_e64 s[0:1], s30, v15
	v_cmp_le_u32_e32 vcc, s31, v7
	v_cndmask_b32_e64 v15, 0, -1, s[0:1]
	v_cmp_eq_u32_e64 s[0:1], s31, v12
	v_cndmask_b32_e64 v13, 0, -1, vcc
	v_cmp_le_u32_e32 vcc, s30, v9
	v_cndmask_b32_e64 v12, v16, v15, s[0:1]
	v_cndmask_b32_e64 v9, 0, -1, vcc
	v_cmp_eq_u32_e32 vcc, s31, v7
	v_add_co_u32_e64 v15, s[0:1], 2, v11
	v_add_co_u32_e64 v16, s[0:1], 1, v11
	v_cndmask_b32_e32 v7, v13, v9, vcc
	v_cmp_ne_u32_e32 vcc, 0, v12
	v_cndmask_b32_e32 v9, v16, v15, vcc
	v_cmp_ne_u32_e32 vcc, 0, v7
	v_cndmask_b32_e32 v7, v11, v9, vcc
	v_xor_b32_e32 v9, s20, v10
	v_xor_b32_e32 v7, v7, v9
	v_sub_co_u32_e32 v12, vcc, v7, v9
.LBB0_10:
	s_or_saveexec_b64 s[0:1], s[8:9]
	v_mov_b32_e32 v9, v6
	s_xor_b64 exec, exec, s[0:1]
	s_cbranch_execz .LBB0_12
; %bb.11:
	v_cvt_f32_u32_e32 v7, s2
	s_sub_i32 s3, 0, s2
	v_rcp_iflag_f32_e32 v7, v7
	v_mul_f32_e32 v7, 0x4f7ffffe, v7
	v_cvt_u32_f32_e32 v7, v7
	v_mul_lo_u32 v10, s3, v7
	v_mul_hi_u32 v10, v7, v10
	v_add_u32_e32 v7, v7, v10
	v_mul_hi_u32 v7, v9, v7
	v_mul_lo_u32 v10, v7, s2
	v_sub_u32_e32 v10, v9, v10
	v_add_u32_e32 v11, 1, v7
	v_subrev_u32_e32 v12, s2, v10
	v_cmp_le_u32_e32 vcc, s2, v10
	v_cndmask_b32_e32 v10, v10, v12, vcc
	v_cndmask_b32_e32 v7, v7, v11, vcc
	v_add_u32_e32 v11, 1, v7
	v_cmp_le_u32_e32 vcc, s2, v10
	v_cndmask_b32_e32 v12, v7, v11, vcc
.LBB0_12:
	s_or_b64 exec, exec, s[0:1]
	s_waitcnt lgkmcnt(0)
	s_mul_i32 s20, s34, s6
	s_mul_i32 s6, s28, s27
	s_mul_hi_u32 s8, s28, s26
	s_add_i32 s6, s8, s6
	s_mul_i32 s8, s29, s26
	s_add_i32 s8, s6, s8
	s_mul_i32 s6, s28, s26
	s_mul_i32 s9, s6, s35
	s_mul_hi_u32 s26, s6, s34
	s_add_i32 s9, s26, s9
	s_mul_i32 s8, s8, s34
	s_mul_i32 s26, s6, s34
	s_add_i32 s8, s9, s8
	s_mul_i32 s9, s26, s45
	s_mul_hi_u32 s27, s26, s44
	s_mul_i32 s8, s8, s44
	s_add_i32 s9, s27, s9
	s_mul_i32 s1, s34, s39
	s_mul_i32 s7, s34, s41
	s_add_i32 s9, s9, s8
	s_mul_i32 s8, s26, s44
	s_ashr_i32 s2, s43, 2
	s_ashr_i32 s0, s38, 2
	;; [unrolled: 1-line block ×5, first 2 shown]
	s_lshl_b64 s[8:9], s[8:9], 2
	s_add_u32 s8, s22, s8
	s_addc_u32 s9, s23, s9
	s_add_u32 s1, s10, s1
	v_lshlrev_b64 v[10:11], 2, v[4:5]
	s_addc_u32 s3, s11, s3
	v_mov_b32_e32 v5, s3
	v_add_co_u32_e32 v4, vcc, s1, v10
	s_add_u32 s1, s12, s7
	v_ashrrev_i64 v[8:9], 30, v[8:9]
	v_addc_co_u32_e32 v5, vcc, v5, v11, vcc
	s_addc_u32 s3, s13, s30
	v_mul_lo_u32 v13, v6, s42
	v_mov_b32_e32 v7, s3
	v_add_co_u32_e32 v6, vcc, s1, v8
	v_addc_co_u32_e32 v7, vcc, v7, v9, vcc
	v_ashrrev_i32_e32 v15, 31, v13
	v_mov_b32_e32 v9, s15
	v_add_co_u32_e32 v8, vcc, s14, v13
	v_addc_co_u32_e32 v9, vcc, v9, v15, vcc
	v_mbcnt_lo_u32_b32 v15, -1, 0
	v_mbcnt_hi_u32_b32 v15, -1, v15
	v_mov_b32_e32 v13, s9
	v_add_co_u32_e32 v10, vcc, s8, v10
	v_and_b32_e32 v16, 0x60, v15
	v_addc_co_u32_e32 v11, vcc, v13, v11, vcc
	v_add_u32_e32 v16, 32, v16
	v_xor_b32_e32 v17, 16, v15
	v_cmp_lt_i32_e32 vcc, v17, v16
	v_cndmask_b32_e32 v17, v15, v17, vcc
	v_lshlrev_b32_e32 v25, 2, v17
	v_xor_b32_e32 v17, 8, v15
	v_cmp_lt_i32_e32 vcc, v17, v16
	v_cndmask_b32_e32 v17, v15, v17, vcc
	v_lshlrev_b32_e32 v26, 2, v17
	v_xor_b32_e32 v17, 4, v15
	v_cmp_lt_i32_e32 vcc, v17, v16
	v_cndmask_b32_e32 v17, v15, v17, vcc
	v_lshlrev_b32_e32 v27, 2, v17
	v_xor_b32_e32 v17, 2, v15
	s_ashr_i32 s8, s40, 2
	v_cmp_lt_i32_e32 vcc, v17, v16
	s_mul_i32 s10, s34, s4
	s_ashr_i32 s12, s5, 2
	s_ashr_i32 s9, s8, 31
	;; [unrolled: 1-line block ×3, first 2 shown]
	v_cndmask_b32_e32 v17, v15, v17, vcc
	s_bfe_i64 s[4:5], s[6:7], 0x200000
	s_ashr_i32 s11, s10, 31
	s_ashr_i32 s3, s2, 31
	;; [unrolled: 1-line block ×3, first 2 shown]
	v_lshlrev_b32_e32 v28, 2, v17
	v_xor_b32_e32 v17, 1, v15
	s_lshl_b64 s[4:5], s[4:5], 2
	s_lshl_b64 s[6:7], s[8:9], 2
	;; [unrolled: 1-line block ×3, first 2 shown]
	v_cmp_lt_i32_e32 vcc, v17, v16
	s_add_u32 s0, s16, s10
	v_cndmask_b32_e32 v15, v15, v17, vcc
	s_addc_u32 s1, s17, s11
	v_lshlrev_b32_e32 v29, 2, v15
	v_cmp_eq_u32_e32 vcc, 0, v14
	v_mov_b32_e32 v15, s1
	v_add_co_u32_e64 v14, s[0:1], s0, v20
	v_addc_co_u32_e64 v15, s[0:1], 0, v15, s[0:1]
	s_lshl_b64 s[10:11], s[2:3], 2
	s_add_u32 s0, s18, s20
	s_addc_u32 s1, s19, s21
	v_lshlrev_b32_e32 v12, 9, v12
	v_mov_b32_e32 v17, s1
	v_add_co_u32_e64 v16, s[0:1], s0, v20
	v_ashrrev_i32_e32 v13, 31, v12
	v_addc_co_u32_e64 v17, s[0:1], 0, v17, s[0:1]
	s_lshl_b64 s[12:13], s[12:13], 2
	s_mov_b32 s16, 0x41a00000
	s_mov_b32 s17, 0x3fb8aa3b
	;; [unrolled: 1-line block ×6, first 2 shown]
	v_mov_b32_e32 v30, 0x3f2aaada
	s_mov_b32 s26, 0x3f317218
	s_mov_b32 s27, 0x33800000
	v_mov_b32_e32 v31, 0x7f800000
	v_mov_b32_e32 v18, 0x3f317218
	global_load_dword v19, v[6:7], off
	s_waitcnt vmcnt(0)
	v_cmp_ge_f32_e64 s[0:1], s16, v19
	s_and_saveexec_b64 s[14:15], s[0:1]
	s_cbranch_execz .LBB0_14
.LBB0_13:
	v_mul_f32_e32 v32, 0x3fb8aa3b, v19
	v_rndne_f32_e32 v33, v32
	v_sub_f32_e32 v34, v32, v33
	v_fma_f32 v32, v19, s17, -v32
	v_fmac_f32_e32 v32, 0x32a5705f, v19
	v_add_f32_e32 v32, v34, v32
	v_cvt_i32_f32_e32 v33, v33
	v_exp_f32_e32 v32, v32
	v_cmp_ngt_f32_e64 s[0:1], s18, v19
	v_ldexp_f32 v32, v32, v33
	v_cndmask_b32_e64 v32, 0, v32, s[0:1]
	v_cmp_nlt_f32_e64 s[0:1], s19, v19
	v_cndmask_b32_e64 v48, v31, v32, s[0:1]
	v_add_f32_e32 v19, 1.0, v48
	v_add_f32_e32 v32, -1.0, v19
	v_sub_f32_e32 v33, v32, v19
	v_add_f32_e32 v33, 1.0, v33
	v_sub_f32_e32 v32, v48, v32
	v_add_f32_e32 v34, v32, v33
	v_frexp_mant_f32_e32 v35, v19
	v_cvt_f64_f32_e32 v[32:33], v19
	v_frexp_exp_i32_f64_e32 v32, v[32:33]
	v_cmp_gt_f32_e64 s[0:1], s21, v35
	v_subbrev_co_u32_e64 v40, s[0:1], 0, v32, s[0:1]
	v_sub_u32_e32 v32, 0, v40
	v_ldexp_f32 v19, v19, v32
	v_ldexp_f32 v32, v34, v32
	v_add_f32_e32 v34, -1.0, v19
	v_add_f32_e32 v33, 1.0, v34
	v_sub_f32_e32 v33, v19, v33
	v_add_f32_e32 v35, v32, v33
	v_add_f32_e32 v33, 1.0, v19
	v_add_f32_e32 v36, -1.0, v33
	v_sub_f32_e32 v19, v19, v36
	v_add_f32_e32 v19, v32, v19
	v_add_f32_e32 v41, v33, v19
	v_rcp_f32_e32 v42, v41
	v_sub_f32_e32 v32, v33, v41
	v_add_f32_e32 v33, v34, v35
	v_add_f32_e32 v19, v19, v32
	v_mul_f32_e32 v44, v33, v42
	v_sub_f32_e32 v32, v34, v33
	v_mul_f32_e32 v34, v41, v44
	v_fma_f32 v36, v44, v41, -v34
	v_fmac_f32_e32 v36, v44, v19
	v_add_f32_e32 v43, v35, v32
	v_add_f32_e32 v32, v34, v36
	v_sub_f32_e32 v35, v33, v32
	v_pk_add_f32 v[38:39], v[32:33], v[34:35] neg_lo:[0,1] neg_hi:[0,1]
	v_mov_b32_e32 v37, v32
	v_pk_add_f32 v[32:33], v[38:39], v[36:37] neg_lo:[0,1] neg_hi:[0,1]
	v_add_f32_e32 v33, v43, v33
	v_add_f32_e32 v32, v32, v33
	;; [unrolled: 1-line block ×3, first 2 shown]
	v_mul_f32_e32 v43, v42, v33
	v_mul_f32_e32 v34, v41, v43
	v_fma_f32 v36, v43, v41, -v34
	v_fmac_f32_e32 v36, v43, v19
	v_sub_f32_e32 v19, v35, v33
	v_add_f32_e32 v19, v32, v19
	v_add_f32_e32 v32, v34, v36
	v_sub_f32_e32 v35, v33, v32
	v_pk_add_f32 v[38:39], v[32:33], v[34:35] neg_lo:[0,1] neg_hi:[0,1]
	v_mov_b32_e32 v37, v32
	v_pk_add_f32 v[32:33], v[38:39], v[36:37] neg_lo:[0,1] neg_hi:[0,1]
	v_add_f32_e32 v19, v19, v33
	v_add_f32_e32 v19, v32, v19
	;; [unrolled: 1-line block ×4, first 2 shown]
	v_sub_f32_e32 v32, v33, v44
	v_mul_f32_e32 v19, v42, v19
	v_sub_f32_e32 v32, v43, v32
	v_add_f32_e32 v34, v32, v19
	v_add_f32_e32 v36, v33, v34
	v_cvt_f32_i32_e32 v32, v40
	v_mul_f32_e32 v37, v36, v36
	v_mov_b32_e32 v19, 0x3ecc95a3
	v_sub_f32_e32 v33, v36, v33
	v_fmac_f32_e32 v19, 0x3e9b6dac, v37
	v_sub_f32_e32 v33, v34, v33
	v_fma_f32 v19, v37, v19, v30
	v_ldexp_f32 v38, v33, 1
	v_mul_f32_e32 v33, v36, v37
	v_ldexp_f32 v35, v36, 1
	v_pk_mul_f32 v[36:37], v[32:33], v[18:19]
	v_fma_f32 v34, v32, s26, -v36
	v_fmac_f32_e32 v34, 0xb102e308, v32
	v_pk_add_f32 v[32:33], v[36:37], v[34:35]
	v_sub_f32_e32 v19, v33, v35
	v_sub_f32_e32 v19, v37, v19
	v_add_f32_e32 v39, v38, v19
	v_mov_b32_e32 v38, v36
	v_pk_add_f32 v[36:37], v[32:33], v[36:37] neg_lo:[0,1] neg_hi:[0,1]
	v_pk_add_f32 v[40:41], v[32:33], v[38:39]
	v_mov_b32_e32 v37, v41
	v_mov_b32_e32 v35, v32
	v_pk_add_f32 v[42:43], v[34:35], v[36:37] neg_lo:[0,1] neg_hi:[0,1]
	v_pk_add_f32 v[34:35], v[34:35], v[36:37]
	v_mov_b32_e32 v36, v35
	v_pk_add_f32 v[44:45], v[36:37], v[32:33] neg_lo:[0,1] neg_hi:[0,1]
	v_mov_b32_e32 v19, v44
	v_pk_add_f32 v[46:47], v[40:41], v[18:19] neg_lo:[0,1] neg_hi:[0,1]
	v_mov_b32_e32 v34, v41
	v_mov_b32_e32 v40, v33
	;; [unrolled: 1-line block ×4, first 2 shown]
	v_pk_add_f32 v[34:35], v[34:35], v[40:41] neg_lo:[0,1] neg_hi:[0,1]
	v_mov_b32_e32 v38, v39
	v_mov_b32_e32 v39, v32
	v_pk_add_f32 v[32:33], v[38:39], v[34:35] neg_lo:[0,1] neg_hi:[0,1]
	v_mov_b32_e32 v46, v42
	v_pk_add_f32 v[34:35], v[46:47], v[32:33]
	v_mov_b32_e32 v38, v35
	v_pk_add_f32 v[38:39], v[34:35], v[38:39]
	v_pk_add_f32 v[36:37], v[36:37], v[38:39]
	v_mov_b32_e32 v35, v36
	v_pk_add_f32 v[40:41], v[34:35], v[42:43] neg_lo:[0,1] neg_hi:[0,1]
	v_mov_b32_e32 v33, v38
	v_sub_f32_e32 v19, v34, v40
	v_pk_add_f32 v[32:33], v[32:33], v[40:41] neg_lo:[0,1] neg_hi:[0,1]
	v_sub_f32_e32 v19, v42, v19
	v_add_f32_e32 v19, v32, v19
	v_add_f32_e32 v19, v19, v33
	v_cmp_eq_f32_e64 s[0:1], s20, v48
	v_cmp_gt_f32_e64 s[2:3], s27, v48
	v_add_f32_e32 v19, v36, v19
	s_or_b64 s[0:1], s[2:3], s[0:1]
	v_cndmask_b32_e64 v19, v19, v48, s[0:1]
.LBB0_14:                               ; =>This Inner Loop Header: Depth=1
	s_or_b64 exec, exec, s[14:15]
	global_load_dword v34, v[8:9], off
	global_load_dword v35, v[4:5], off
	v_add_co_u32_e64 v32, s[0:1], v14, v12
	v_addc_co_u32_e64 v33, s[0:1], v15, v13, s[0:1]
	global_load_dword v36, v[32:33], off
	global_load_dword v37, v[32:33], off offset:128
	global_load_dword v38, v[32:33], off offset:256
	;; [unrolled: 1-line block ×3, first 2 shown]
	v_add_co_u32_e64 v32, s[0:1], v16, v12
	v_addc_co_u32_e64 v33, s[0:1], v17, v13, s[0:1]
	global_load_dword v40, v[32:33], off
	global_load_dword v41, v[32:33], off offset:128
	global_load_dword v42, v[32:33], off offset:256
	;; [unrolled: 1-line block ×3, first 2 shown]
	s_waitcnt vmcnt(9)
	v_mul_f32_e32 v44, v19, v34
	v_mul_f32_e32 v33, 0x3fb8aa3b, v44
	s_waitcnt vmcnt(8)
	v_mul_f32_e32 v32, v19, v35
	v_fma_f32 v34, v44, s17, -v33
	v_rndne_f32_e32 v35, v33
	v_fmac_f32_e32 v34, 0x32a5705f, v44
	v_sub_f32_e32 v33, v33, v35
	v_add_f32_e32 v33, v33, v34
	s_waitcnt vmcnt(7)
	v_mul_f32_e32 v19, v32, v36
	v_cvt_i32_f32_e32 v35, v35
	v_exp_f32_e32 v36, v33
	v_cmp_ngt_f32_e64 s[0:1], s18, v44
	s_waitcnt vmcnt(6)
	v_mul_f32_e32 v34, v32, v37
	s_waitcnt vmcnt(5)
	v_mul_f32_e32 v33, v32, v38
	v_ldexp_f32 v35, v36, v35
	v_cndmask_b32_e64 v35, 0, v35, s[0:1]
	v_cmp_nlt_f32_e64 s[0:1], s19, v44
	v_cndmask_b32_e64 v35, v31, v35, s[0:1]
	v_fmac_f32_e32 v19, v35, v21
	v_fmac_f32_e32 v34, v35, v22
	s_waitcnt vmcnt(3)
	v_fma_f32 v21, v40, v19, 0
	v_mul_f32_e32 v32, v32, v39
	v_fmac_f32_e32 v33, v35, v24
	s_waitcnt vmcnt(2)
	v_fmac_f32_e32 v21, v41, v34
	s_waitcnt vmcnt(1)
	v_fmac_f32_e32 v21, v42, v33
	v_fmac_f32_e32 v32, v35, v23
	s_waitcnt vmcnt(0)
	v_fmac_f32_e32 v21, v43, v32
	ds_bpermute_b32 v22, v25, v21
	s_waitcnt lgkmcnt(0)
	v_add_f32_e32 v21, v21, v22
	ds_bpermute_b32 v22, v26, v21
	s_waitcnt lgkmcnt(0)
	v_add_f32_e32 v21, v21, v22
	;; [unrolled: 3-line block ×4, first 2 shown]
	ds_bpermute_b32 v22, v29, v21
	s_and_saveexec_b64 s[0:1], vcc
	s_cbranch_execz .LBB0_16
; %bb.15:                               ;   in Loop: Header=BB0_14 Depth=1
	s_waitcnt lgkmcnt(0)
	v_add_f32_e32 v21, v21, v22
	global_store_dword v[10:11], v21, off
.LBB0_16:                               ;   in Loop: Header=BB0_14 Depth=1
	s_or_b64 exec, exec, s[0:1]
	v_mov_b32_e32 v21, s5
	v_add_co_u32_e64 v10, s[0:1], s4, v10
	v_addc_co_u32_e64 v11, s[0:1], v11, v21, s[0:1]
	v_mov_b32_e32 v21, s7
	v_add_co_u32_e64 v6, s[0:1], s6, v6
	v_addc_co_u32_e64 v7, s[0:1], v7, v21, s[0:1]
	;; [unrolled: 3-line block ×3, first 2 shown]
	v_mov_b32_e32 v21, s11
	v_add_co_u32_e64 v14, s[0:1], s10, v14
	s_add_u32 s44, s44, -1
	v_addc_co_u32_e64 v15, s[0:1], v15, v21, s[0:1]
	s_addc_u32 s45, s45, -1
	v_mov_b32_e32 v21, s13
	v_add_co_u32_e64 v16, s[0:1], s12, v16
	s_cmp_eq_u64 s[44:45], 0
	v_addc_co_u32_e64 v17, s[0:1], v17, v21, s[0:1]
	s_cbranch_scc1 .LBB0_19
; %bb.17:                               ;   in Loop: Header=BB0_14 Depth=1
	v_mov_b32_e32 v21, v19
	s_waitcnt lgkmcnt(0)
	v_mov_b32_e32 v22, v34
	v_mov_b32_e32 v24, v33
	;; [unrolled: 1-line block ×3, first 2 shown]
	global_load_dword v19, v[6:7], off
	s_waitcnt vmcnt(0)
	v_cmp_ge_f32_e64 s[0:1], s16, v19
	s_and_saveexec_b64 s[14:15], s[0:1]
	s_cbranch_execnz .LBB0_13
	s_branch .LBB0_14
.LBB0_18:
	s_waitcnt vmcnt(0)
	v_mov_b32_e32 v32, v23
	v_mov_b32_e32 v33, v24
	;; [unrolled: 1-line block ×4, first 2 shown]
.LBB0_19:
	s_add_u32 s0, s22, s24
	s_mul_i32 s2, s34, s37
	s_addc_u32 s1, s23, s25
	s_ashr_i32 s3, s2, 31
	s_add_u32 s0, s0, s2
	s_addc_u32 s1, s1, s3
	v_mov_b32_e32 v4, s1
	v_add_co_u32_e32 v0, vcc, s0, v0
	v_addc_co_u32_e32 v1, vcc, v4, v1, vcc
	v_add_co_u32_e32 v0, vcc, v0, v2
	v_addc_co_u32_e32 v1, vcc, v1, v3, vcc
	;; [unrolled: 2-line block ×3, first 2 shown]
	global_store_dword v[0:1], v19, off
	global_store_dword v[0:1], v34, off offset:128
	global_store_dword v[0:1], v33, off offset:256
	;; [unrolled: 1-line block ×3, first 2 shown]
	s_endpgm
.LBB0_20:
                                        ; implicit-def: $sgpr2_sgpr3
	s_load_dwordx4 s[4:7], s[4:5], 0x60
	s_branch .LBB0_7
	.section	.rodata,"a",@progbits
	.p2align	6, 0x0
	.amdhsa_kernel _Z18ssm_scan_f32_groupILi4ELi128EEvPKfS1_S1_S1_S1_S1_PKiPfiiiiiiiiiiilllll
		.amdhsa_group_segment_fixed_size 0
		.amdhsa_private_segment_fixed_size 0
		.amdhsa_kernarg_size 152
		.amdhsa_user_sgpr_count 6
		.amdhsa_user_sgpr_private_segment_buffer 1
		.amdhsa_user_sgpr_dispatch_ptr 0
		.amdhsa_user_sgpr_queue_ptr 0
		.amdhsa_user_sgpr_kernarg_segment_ptr 1
		.amdhsa_user_sgpr_dispatch_id 0
		.amdhsa_user_sgpr_flat_scratch_init 0
		.amdhsa_user_sgpr_kernarg_preload_length 0
		.amdhsa_user_sgpr_kernarg_preload_offset 0
		.amdhsa_user_sgpr_private_segment_size 0
		.amdhsa_uses_dynamic_stack 0
		.amdhsa_system_sgpr_private_segment_wavefront_offset 0
		.amdhsa_system_sgpr_workgroup_id_x 1
		.amdhsa_system_sgpr_workgroup_id_y 1
		.amdhsa_system_sgpr_workgroup_id_z 0
		.amdhsa_system_sgpr_workgroup_info 0
		.amdhsa_system_vgpr_workitem_id 0
		.amdhsa_next_free_vgpr 49
		.amdhsa_next_free_sgpr 50
		.amdhsa_accum_offset 52
		.amdhsa_reserve_vcc 1
		.amdhsa_reserve_flat_scratch 0
		.amdhsa_float_round_mode_32 0
		.amdhsa_float_round_mode_16_64 0
		.amdhsa_float_denorm_mode_32 3
		.amdhsa_float_denorm_mode_16_64 3
		.amdhsa_dx10_clamp 1
		.amdhsa_ieee_mode 1
		.amdhsa_fp16_overflow 0
		.amdhsa_tg_split 0
		.amdhsa_exception_fp_ieee_invalid_op 0
		.amdhsa_exception_fp_denorm_src 0
		.amdhsa_exception_fp_ieee_div_zero 0
		.amdhsa_exception_fp_ieee_overflow 0
		.amdhsa_exception_fp_ieee_underflow 0
		.amdhsa_exception_fp_ieee_inexact 0
		.amdhsa_exception_int_div_zero 0
	.end_amdhsa_kernel
	.section	.text._Z18ssm_scan_f32_groupILi4ELi128EEvPKfS1_S1_S1_S1_S1_PKiPfiiiiiiiiiiilllll,"axG",@progbits,_Z18ssm_scan_f32_groupILi4ELi128EEvPKfS1_S1_S1_S1_S1_PKiPfiiiiiiiiiiilllll,comdat
.Lfunc_end0:
	.size	_Z18ssm_scan_f32_groupILi4ELi128EEvPKfS1_S1_S1_S1_S1_PKiPfiiiiiiiiiiilllll, .Lfunc_end0-_Z18ssm_scan_f32_groupILi4ELi128EEvPKfS1_S1_S1_S1_S1_PKiPfiiiiiiiiiiilllll
                                        ; -- End function
	.section	.AMDGPU.csdata,"",@progbits
; Kernel info:
; codeLenInByte = 4372
; NumSgprs: 54
; NumVgprs: 49
; NumAgprs: 0
; TotalNumVgprs: 49
; ScratchSize: 0
; MemoryBound: 0
; FloatMode: 240
; IeeeMode: 1
; LDSByteSize: 0 bytes/workgroup (compile time only)
; SGPRBlocks: 6
; VGPRBlocks: 6
; NumSGPRsForWavesPerEU: 54
; NumVGPRsForWavesPerEU: 49
; AccumOffset: 52
; Occupancy: 8
; WaveLimiterHint : 1
; COMPUTE_PGM_RSRC2:SCRATCH_EN: 0
; COMPUTE_PGM_RSRC2:USER_SGPR: 6
; COMPUTE_PGM_RSRC2:TRAP_HANDLER: 0
; COMPUTE_PGM_RSRC2:TGID_X_EN: 1
; COMPUTE_PGM_RSRC2:TGID_Y_EN: 1
; COMPUTE_PGM_RSRC2:TGID_Z_EN: 0
; COMPUTE_PGM_RSRC2:TIDIG_COMP_CNT: 0
; COMPUTE_PGM_RSRC3_GFX90A:ACCUM_OFFSET: 12
; COMPUTE_PGM_RSRC3_GFX90A:TG_SPLIT: 0
	.section	.text._Z18ssm_scan_f32_groupILi8ELi256EEvPKfS1_S1_S1_S1_S1_PKiPfiiiiiiiiiiilllll,"axG",@progbits,_Z18ssm_scan_f32_groupILi8ELi256EEvPKfS1_S1_S1_S1_S1_PKiPfiiiiiiiiiiilllll,comdat
	.protected	_Z18ssm_scan_f32_groupILi8ELi256EEvPKfS1_S1_S1_S1_S1_PKiPfiiiiiiiiiiilllll ; -- Begin function _Z18ssm_scan_f32_groupILi8ELi256EEvPKfS1_S1_S1_S1_S1_PKiPfiiiiiiiiiiilllll
	.globl	_Z18ssm_scan_f32_groupILi8ELi256EEvPKfS1_S1_S1_S1_S1_PKiPfiiiiiiiiiiilllll
	.p2align	8
	.type	_Z18ssm_scan_f32_groupILi8ELi256EEvPKfS1_S1_S1_S1_S1_PKiPfiiiiiiiiiiilllll,@function
_Z18ssm_scan_f32_groupILi8ELi256EEvPKfS1_S1_S1_S1_S1_PKiPfiiiiiiiiiiilllll: ; @_Z18ssm_scan_f32_groupILi8ELi256EEvPKfS1_S1_S1_S1_S1_PKiPfiiiiiiiiiiilllll
; %bb.0:
	s_load_dwordx8 s[24:31], s[4:5], 0x70
	s_load_dwordx2 s[44:45], s[4:5], 0x90
	v_lshrrev_b32_e32 v1, 5, v0
	v_lshl_or_b32 v4, s6, 3, v1
	v_ashrrev_i32_e32 v5, 31, v4
	s_waitcnt lgkmcnt(0)
	v_or_b32_e32 v3, s29, v5
	v_mov_b32_e32 v2, 0
	s_mov_b32 s34, s7
	v_cmp_ne_u64_e32 vcc, 0, v[2:3]
                                        ; implicit-def: $vgpr6_vgpr7
	s_and_saveexec_b64 s[0:1], vcc
	s_xor_b64 s[2:3], exec, s[0:1]
	s_cbranch_execz .LBB1_2
; %bb.1:
	s_ashr_i32 s6, s29, 31
	s_add_u32 s0, s28, s6
	s_mov_b32 s7, s6
	s_addc_u32 s1, s29, s6
	s_xor_b64 s[8:9], s[0:1], s[6:7]
	v_cvt_f32_u32_e32 v1, s8
	v_cvt_f32_u32_e32 v2, s9
	s_sub_u32 s0, 0, s8
	s_subb_u32 s1, 0, s9
	v_madmk_f32 v1, v2, 0x4f800000, v1
	v_rcp_f32_e32 v1, v1
	v_mul_f32_e32 v1, 0x5f7ffffc, v1
	v_mul_f32_e32 v2, 0x2f800000, v1
	v_trunc_f32_e32 v2, v2
	v_madmk_f32 v1, v2, 0xcf800000, v1
	v_cvt_u32_f32_e32 v2, v2
	v_cvt_u32_f32_e32 v1, v1
	v_mul_lo_u32 v3, s0, v2
	v_mul_hi_u32 v7, s0, v1
	v_mul_lo_u32 v6, s1, v1
	v_add_u32_e32 v3, v7, v3
	v_mul_lo_u32 v8, s0, v1
	v_add_u32_e32 v3, v3, v6
	v_mul_lo_u32 v7, v1, v3
	v_mul_hi_u32 v9, v1, v8
	v_mul_hi_u32 v6, v1, v3
	v_add_co_u32_e32 v7, vcc, v9, v7
	v_addc_co_u32_e32 v6, vcc, 0, v6, vcc
	v_mul_hi_u32 v10, v2, v8
	v_mul_lo_u32 v8, v2, v8
	v_add_co_u32_e32 v7, vcc, v7, v8
	v_mul_hi_u32 v9, v2, v3
	v_addc_co_u32_e32 v6, vcc, v6, v10, vcc
	v_addc_co_u32_e32 v7, vcc, 0, v9, vcc
	v_mul_lo_u32 v3, v2, v3
	v_add_co_u32_e32 v3, vcc, v6, v3
	v_addc_co_u32_e32 v6, vcc, 0, v7, vcc
	v_add_co_u32_e32 v1, vcc, v1, v3
	v_addc_co_u32_e32 v2, vcc, v2, v6, vcc
	v_mul_lo_u32 v3, s0, v2
	v_mul_hi_u32 v6, s0, v1
	v_add_u32_e32 v3, v6, v3
	v_mul_lo_u32 v6, s1, v1
	v_add_u32_e32 v3, v3, v6
	v_mul_lo_u32 v7, s0, v1
	v_mul_hi_u32 v8, v2, v7
	v_mul_lo_u32 v9, v2, v7
	v_mul_lo_u32 v11, v1, v3
	v_mul_hi_u32 v7, v1, v7
	v_mul_hi_u32 v10, v1, v3
	v_add_co_u32_e32 v7, vcc, v7, v11
	v_addc_co_u32_e32 v10, vcc, 0, v10, vcc
	v_add_co_u32_e32 v7, vcc, v7, v9
	v_mul_hi_u32 v6, v2, v3
	v_addc_co_u32_e32 v7, vcc, v10, v8, vcc
	v_addc_co_u32_e32 v6, vcc, 0, v6, vcc
	v_mul_lo_u32 v3, v2, v3
	v_add_co_u32_e32 v3, vcc, v7, v3
	v_addc_co_u32_e32 v6, vcc, 0, v6, vcc
	v_add_co_u32_e32 v3, vcc, v1, v3
	v_addc_co_u32_e32 v8, vcc, v2, v6, vcc
	v_mov_b32_e32 v2, v5
	v_mov_b32_e32 v1, v5
	v_add_co_u32_e32 v6, vcc, v4, v2
	v_addc_co_u32_e32 v7, vcc, v5, v1, vcc
	v_xor_b32_e32 v10, v6, v2
	v_xor_b32_e32 v1, v7, v1
	v_mad_u64_u32 v[6:7], s[0:1], v10, v8, 0
	v_mul_hi_u32 v9, v10, v3
	v_add_co_u32_e32 v11, vcc, v9, v6
	v_addc_co_u32_e32 v12, vcc, 0, v7, vcc
	v_mad_u64_u32 v[6:7], s[0:1], v1, v8, 0
	v_mad_u64_u32 v[8:9], s[0:1], v1, v3, 0
	v_add_co_u32_e32 v3, vcc, v11, v8
	v_addc_co_u32_e32 v3, vcc, v12, v9, vcc
	v_addc_co_u32_e32 v7, vcc, 0, v7, vcc
	v_add_co_u32_e32 v3, vcc, v3, v6
	v_addc_co_u32_e32 v6, vcc, 0, v7, vcc
	v_mul_lo_u32 v8, s9, v3
	v_mul_lo_u32 v9, s8, v6
	v_mad_u64_u32 v[6:7], s[0:1], s8, v3, 0
	v_add3_u32 v7, v7, v9, v8
	v_sub_u32_e32 v8, v1, v7
	v_mov_b32_e32 v9, s9
	v_sub_co_u32_e32 v6, vcc, v10, v6
	v_subb_co_u32_e64 v8, s[0:1], v8, v9, vcc
	v_subrev_co_u32_e64 v9, s[0:1], s8, v6
	v_subbrev_co_u32_e64 v8, s[0:1], 0, v8, s[0:1]
	v_cmp_le_u32_e64 s[0:1], s9, v8
	v_subb_co_u32_e32 v1, vcc, v1, v7, vcc
	v_cndmask_b32_e64 v10, 0, -1, s[0:1]
	v_cmp_le_u32_e64 s[0:1], s8, v9
	v_cmp_le_u32_e32 vcc, s9, v1
	v_cndmask_b32_e64 v9, 0, -1, s[0:1]
	v_cmp_eq_u32_e64 s[0:1], s9, v8
	v_cndmask_b32_e64 v7, 0, -1, vcc
	v_cmp_le_u32_e32 vcc, s8, v6
	v_cndmask_b32_e64 v8, v10, v9, s[0:1]
	v_cndmask_b32_e64 v6, 0, -1, vcc
	v_cmp_eq_u32_e32 vcc, s9, v1
	v_add_co_u32_e64 v9, s[0:1], 2, v3
	v_add_co_u32_e64 v10, s[0:1], 1, v3
	v_cndmask_b32_e32 v1, v7, v6, vcc
	v_cmp_ne_u32_e32 vcc, 0, v8
	v_cndmask_b32_e32 v6, v10, v9, vcc
	v_cmp_ne_u32_e32 vcc, 0, v1
	v_cndmask_b32_e32 v1, v3, v6, vcc
	v_xor_b32_e32 v2, s6, v2
	v_xor_b32_e32 v1, v1, v2
	v_sub_co_u32_e32 v6, vcc, v1, v2
.LBB1_2:
	s_andn2_saveexec_b64 s[0:1], s[2:3]
	s_cbranch_execz .LBB1_4
; %bb.3:
	v_cvt_f32_u32_e32 v1, s28
	s_sub_i32 s2, 0, s28
	v_rcp_iflag_f32_e32 v1, v1
	v_mul_f32_e32 v1, 0x4f7ffffe, v1
	v_cvt_u32_f32_e32 v1, v1
	v_mul_lo_u32 v2, s2, v1
	v_mul_hi_u32 v2, v1, v2
	v_add_u32_e32 v1, v1, v2
	v_mul_hi_u32 v1, v4, v1
	v_mul_lo_u32 v2, v1, s28
	v_sub_u32_e32 v2, v4, v2
	v_add_u32_e32 v3, 1, v1
	v_subrev_u32_e32 v6, s28, v2
	v_cmp_le_u32_e32 vcc, s28, v2
	v_cndmask_b32_e32 v2, v2, v6, vcc
	v_cndmask_b32_e32 v1, v1, v3, vcc
	v_add_u32_e32 v3, 1, v1
	v_cmp_le_u32_e32 vcc, s28, v2
	v_cndmask_b32_e32 v6, v1, v3, vcc
.LBB1_4:
	s_or_b64 exec, exec, s[0:1]
	s_load_dwordx16 s[8:23], s[4:5], 0x0
	s_load_dwordx8 s[36:43], s[4:5], 0x40
	s_ashr_i32 s35, s34, 31
	s_lshl_b64 s[0:1], s[34:35], 2
	v_and_b32_e32 v14, 31, v0
	s_waitcnt lgkmcnt(0)
	s_add_u32 s0, s20, s0
	s_addc_u32 s1, s21, s1
	s_load_dword s0, s[0:1], 0x0
	v_mul_lo_u32 v0, v6, s28
	v_sub_u32_e32 v2, v4, v0
	v_mul_lo_u32 v0, v6, s36
	v_ashrrev_i32_e32 v1, 31, v0
	s_waitcnt lgkmcnt(0)
	s_mul_i32 s0, s0, s37
	s_ashr_i32 s1, s0, 31
	s_add_u32 s0, s8, s0
	s_addc_u32 s1, s9, s1
	v_mov_b32_e32 v3, s1
	v_add_co_u32_e32 v7, vcc, s0, v0
	v_addc_co_u32_e32 v8, vcc, v3, v1, vcc
	v_lshlrev_b32_e32 v2, 10, v2
	v_ashrrev_i32_e32 v3, 31, v2
	v_add_co_u32_e32 v7, vcc, v7, v2
	v_addc_co_u32_e32 v9, vcc, v8, v3, vcc
	v_lshlrev_b32_e32 v20, 2, v14
	v_add_co_u32_e32 v8, vcc, v7, v20
	v_addc_co_u32_e32 v9, vcc, 0, v9, vcc
	global_load_dword v21, v[8:9], off
	global_load_dword v22, v[8:9], off offset:128
	global_load_dword v23, v[8:9], off offset:256
	;; [unrolled: 1-line block ×7, first 2 shown]
	v_cmp_lt_i64_e64 s[2:3], s[44:45], 1
	s_mov_b32 s0, 0
	s_and_b64 vcc, exec, s[2:3]
	s_cbranch_vccnz .LBB1_18
; %bb.5:
	s_or_b64 s[2:3], s[26:27], s[30:31]
	s_mov_b32 s1, s3
	s_cmp_lg_u64 s[0:1], 0
	s_cbranch_scc0 .LBB1_20
; %bb.6:
	s_ashr_i32 s2, s31, 31
	s_add_u32 s0, s30, s2
	s_mov_b32 s3, s2
	s_addc_u32 s1, s31, s2
	s_xor_b64 s[6:7], s[0:1], s[2:3]
	v_cvt_f32_u32_e32 v7, s6
	v_cvt_f32_u32_e32 v8, s7
	s_sub_u32 s0, 0, s6
	s_subb_u32 s1, 0, s7
	v_madmk_f32 v7, v8, 0x4f800000, v7
	v_rcp_f32_e32 v7, v7
	v_mul_f32_e32 v7, 0x5f7ffffc, v7
	v_mul_f32_e32 v8, 0x2f800000, v7
	v_trunc_f32_e32 v8, v8
	v_madmk_f32 v7, v8, 0xcf800000, v7
	v_cvt_u32_f32_e32 v8, v8
	v_cvt_u32_f32_e32 v7, v7
	v_readfirstlane_b32 s20, v8
	v_readfirstlane_b32 s21, v7
	s_mul_i32 s31, s0, s20
	s_mul_hi_u32 s36, s0, s21
	s_mul_i32 s33, s1, s21
	s_add_i32 s31, s36, s31
	s_add_i32 s31, s31, s33
	s_mul_i32 s46, s0, s21
	s_mul_hi_u32 s33, s21, s31
	s_mul_i32 s36, s21, s31
	s_mul_hi_u32 s21, s21, s46
	s_add_u32 s21, s21, s36
	s_addc_u32 s33, 0, s33
	s_mul_hi_u32 s47, s20, s46
	s_mul_i32 s46, s20, s46
	s_add_u32 s21, s21, s46
	s_mul_hi_u32 s36, s20, s31
	s_addc_u32 s21, s33, s47
	s_addc_u32 s33, s36, 0
	s_mul_i32 s31, s20, s31
	s_add_u32 s21, s21, s31
	s_addc_u32 s31, 0, s33
	v_add_co_u32_e32 v7, vcc, s21, v7
	s_cmp_lg_u64 vcc, 0
	s_addc_u32 s20, s20, s31
	v_readfirstlane_b32 s31, v7
	s_mul_i32 s21, s0, s20
	s_mul_hi_u32 s33, s0, s31
	s_add_i32 s21, s33, s21
	s_mul_i32 s1, s1, s31
	s_add_i32 s21, s21, s1
	s_mul_i32 s0, s0, s31
	s_mul_hi_u32 s33, s20, s0
	s_mul_i32 s36, s20, s0
	s_mul_i32 s47, s31, s21
	s_mul_hi_u32 s0, s31, s0
	s_mul_hi_u32 s46, s31, s21
	s_add_u32 s0, s0, s47
	s_addc_u32 s31, 0, s46
	s_add_u32 s0, s0, s36
	s_mul_hi_u32 s1, s20, s21
	s_addc_u32 s0, s31, s33
	s_addc_u32 s1, s1, 0
	s_mul_i32 s21, s20, s21
	s_add_u32 s0, s0, s21
	s_addc_u32 s1, 0, s1
	v_add_co_u32_e32 v7, vcc, s0, v7
	s_cmp_lg_u64 vcc, 0
	s_addc_u32 s31, s20, s1
	s_ashr_i32 s20, s27, 31
	s_add_u32 s0, s26, s20
	s_mov_b32 s21, s20
	s_addc_u32 s1, s27, s20
	s_xor_b64 s[46:47], s[0:1], s[20:21]
	v_readfirstlane_b32 s33, v7
	s_mul_i32 s1, s46, s31
	s_mul_hi_u32 s36, s46, s33
	s_mul_hi_u32 s0, s46, s31
	s_add_u32 s1, s36, s1
	s_addc_u32 s0, 0, s0
	s_mul_hi_u32 s48, s47, s33
	s_mul_i32 s33, s47, s33
	s_add_u32 s1, s1, s33
	s_mul_hi_u32 s36, s47, s31
	s_addc_u32 s0, s0, s48
	s_addc_u32 s1, s36, 0
	s_mul_i32 s31, s47, s31
	s_add_u32 s31, s0, s31
	s_addc_u32 s33, 0, s1
	s_mul_i32 s0, s6, s33
	s_mul_hi_u32 s1, s6, s31
	s_add_i32 s0, s1, s0
	s_mul_i32 s1, s7, s31
	s_add_i32 s36, s0, s1
	s_mul_i32 s1, s6, s31
	v_mov_b32_e32 v7, s1
	s_sub_i32 s0, s47, s36
	v_sub_co_u32_e32 v7, vcc, s46, v7
	s_cmp_lg_u64 vcc, 0
	s_subb_u32 s46, s0, s7
	v_subrev_co_u32_e64 v8, s[0:1], s6, v7
	s_cmp_lg_u64 s[0:1], 0
	s_subb_u32 s0, s46, 0
	s_cmp_ge_u32 s0, s7
	v_readfirstlane_b32 s46, v8
	s_cselect_b32 s1, -1, 0
	s_cmp_ge_u32 s46, s6
	s_cselect_b32 s46, -1, 0
	s_cmp_eq_u32 s0, s7
	s_cselect_b32 s0, s46, s1
	s_add_u32 s1, s31, 1
	s_addc_u32 s46, s33, 0
	s_add_u32 s48, s31, 2
	s_addc_u32 s49, s33, 0
	s_cmp_lg_u32 s0, 0
	s_cselect_b32 s0, s48, s1
	s_cselect_b32 s1, s49, s46
	s_cmp_lg_u64 vcc, 0
	s_subb_u32 s36, s47, s36
	s_cmp_ge_u32 s36, s7
	v_readfirstlane_b32 s47, v7
	s_cselect_b32 s46, -1, 0
	s_cmp_ge_u32 s47, s6
	s_cselect_b32 s6, -1, 0
	s_cmp_eq_u32 s36, s7
	s_cselect_b32 s6, s6, s46
	s_cmp_lg_u32 s6, 0
	s_cselect_b32 s1, s1, s33
	s_cselect_b32 s0, s0, s31
	s_xor_b64 s[2:3], s[20:21], s[2:3]
	s_xor_b64 s[0:1], s[0:1], s[2:3]
	s_sub_u32 s2, s0, s2
	s_subb_u32 s3, s1, s3
	s_load_dwordx4 s[4:7], s[4:5], 0x60
	s_cbranch_execnz .LBB1_8
.LBB1_7:
	v_cvt_f32_u32_e32 v7, s30
	s_sub_i32 s0, 0, s30
	s_mov_b32 s3, 0
	v_rcp_iflag_f32_e32 v7, v7
	v_mul_f32_e32 v7, 0x4f7ffffe, v7
	v_cvt_u32_f32_e32 v7, v7
	v_readfirstlane_b32 s1, v7
	s_mul_i32 s0, s0, s1
	s_mul_hi_u32 s0, s1, s0
	s_add_i32 s1, s1, s0
	s_mul_hi_u32 s0, s26, s1
	s_mul_i32 s2, s0, s30
	s_sub_i32 s2, s26, s2
	s_add_i32 s1, s0, 1
	s_waitcnt lgkmcnt(0)
	s_sub_i32 s7, s2, s30
	s_cmp_ge_u32 s2, s30
	s_cselect_b32 s0, s1, s0
	s_cselect_b32 s2, s7, s2
	s_add_i32 s1, s0, 1
	s_cmp_ge_u32 s2, s30
	s_cselect_b32 s2, s1, s0
.LBB1_8:
	v_ashrrev_i32_e32 v7, 31, v6
	v_mov_b32_e32 v8, 0
	v_or_b32_e32 v9, s3, v7
	v_cmp_ne_u64_e32 vcc, 0, v[8:9]
                                        ; implicit-def: $vgpr12_vgpr13
	s_and_saveexec_b64 s[0:1], vcc
	s_xor_b64 s[8:9], exec, s[0:1]
	s_cbranch_execz .LBB1_10
; %bb.9:
	s_ashr_i32 s20, s3, 31
	s_add_u32 s0, s2, s20
	s_mov_b32 s21, s20
	s_addc_u32 s1, s3, s20
	s_xor_b64 s[30:31], s[0:1], s[20:21]
	v_cvt_f32_u32_e32 v9, s30
	v_cvt_f32_u32_e32 v10, s31
	s_sub_u32 s0, 0, s30
	s_subb_u32 s1, 0, s31
	v_madmk_f32 v9, v10, 0x4f800000, v9
	v_rcp_f32_e32 v9, v9
	v_mul_f32_e32 v9, 0x5f7ffffc, v9
	v_mul_f32_e32 v10, 0x2f800000, v9
	v_trunc_f32_e32 v10, v10
	v_madmk_f32 v9, v10, 0xcf800000, v9
	v_cvt_u32_f32_e32 v10, v10
	v_cvt_u32_f32_e32 v9, v9
	v_mul_lo_u32 v11, s0, v10
	v_mul_hi_u32 v13, s0, v9
	v_mul_lo_u32 v12, s1, v9
	v_add_u32_e32 v11, v13, v11
	v_mul_lo_u32 v15, s0, v9
	v_add_u32_e32 v11, v11, v12
	v_mul_lo_u32 v13, v9, v11
	v_mul_hi_u32 v16, v9, v15
	v_mul_hi_u32 v12, v9, v11
	v_add_co_u32_e32 v13, vcc, v16, v13
	v_addc_co_u32_e32 v12, vcc, 0, v12, vcc
	v_mul_hi_u32 v17, v10, v15
	v_mul_lo_u32 v15, v10, v15
	v_add_co_u32_e32 v13, vcc, v13, v15
	v_mul_hi_u32 v16, v10, v11
	v_addc_co_u32_e32 v12, vcc, v12, v17, vcc
	v_addc_co_u32_e32 v13, vcc, 0, v16, vcc
	v_mul_lo_u32 v11, v10, v11
	v_add_co_u32_e32 v11, vcc, v12, v11
	v_addc_co_u32_e32 v12, vcc, 0, v13, vcc
	v_add_co_u32_e32 v9, vcc, v9, v11
	v_addc_co_u32_e32 v10, vcc, v10, v12, vcc
	v_mul_lo_u32 v11, s0, v10
	v_mul_hi_u32 v12, s0, v9
	v_add_u32_e32 v11, v12, v11
	v_mul_lo_u32 v12, s1, v9
	v_add_u32_e32 v11, v11, v12
	v_mul_lo_u32 v13, s0, v9
	v_mul_hi_u32 v15, v10, v13
	v_mul_lo_u32 v16, v10, v13
	v_mul_lo_u32 v18, v9, v11
	v_mul_hi_u32 v13, v9, v13
	v_mul_hi_u32 v17, v9, v11
	v_add_co_u32_e32 v13, vcc, v13, v18
	v_addc_co_u32_e32 v17, vcc, 0, v17, vcc
	v_add_co_u32_e32 v13, vcc, v13, v16
	v_mul_hi_u32 v12, v10, v11
	v_addc_co_u32_e32 v13, vcc, v17, v15, vcc
	v_addc_co_u32_e32 v12, vcc, 0, v12, vcc
	v_mul_lo_u32 v11, v10, v11
	v_add_co_u32_e32 v11, vcc, v13, v11
	v_addc_co_u32_e32 v12, vcc, 0, v12, vcc
	v_add_co_u32_e32 v11, vcc, v9, v11
	v_addc_co_u32_e32 v15, vcc, v10, v12, vcc
	v_mov_b32_e32 v10, v7
	v_mov_b32_e32 v9, v7
	v_add_co_u32_e32 v12, vcc, v6, v10
	v_addc_co_u32_e32 v7, vcc, v7, v9, vcc
	v_xor_b32_e32 v7, v7, v9
	v_xor_b32_e32 v9, v12, v10
	v_mad_u64_u32 v[12:13], s[0:1], v9, v15, 0
	v_mul_hi_u32 v16, v9, v11
	v_add_co_u32_e32 v18, vcc, v16, v12
	v_addc_co_u32_e32 v19, vcc, 0, v13, vcc
	v_mad_u64_u32 v[16:17], s[0:1], v7, v11, 0
	v_add_co_u32_e32 v11, vcc, v18, v16
	v_mad_u64_u32 v[12:13], s[0:1], v7, v15, 0
	v_addc_co_u32_e32 v11, vcc, v19, v17, vcc
	v_addc_co_u32_e32 v13, vcc, 0, v13, vcc
	v_add_co_u32_e32 v11, vcc, v11, v12
	v_addc_co_u32_e32 v12, vcc, 0, v13, vcc
	v_mul_lo_u32 v15, s31, v11
	v_mul_lo_u32 v16, s30, v12
	v_mad_u64_u32 v[12:13], s[0:1], s30, v11, 0
	v_add3_u32 v13, v13, v16, v15
	v_sub_u32_e32 v15, v7, v13
	v_mov_b32_e32 v16, s31
	v_sub_co_u32_e32 v9, vcc, v9, v12
	v_subb_co_u32_e64 v12, s[0:1], v15, v16, vcc
	v_subrev_co_u32_e64 v15, s[0:1], s30, v9
	v_subbrev_co_u32_e64 v12, s[0:1], 0, v12, s[0:1]
	v_cmp_le_u32_e64 s[0:1], s31, v12
	v_subb_co_u32_e32 v7, vcc, v7, v13, vcc
	v_cndmask_b32_e64 v16, 0, -1, s[0:1]
	v_cmp_le_u32_e64 s[0:1], s30, v15
	v_cmp_le_u32_e32 vcc, s31, v7
	v_cndmask_b32_e64 v15, 0, -1, s[0:1]
	v_cmp_eq_u32_e64 s[0:1], s31, v12
	v_cndmask_b32_e64 v13, 0, -1, vcc
	v_cmp_le_u32_e32 vcc, s30, v9
	v_cndmask_b32_e64 v12, v16, v15, s[0:1]
	v_cndmask_b32_e64 v9, 0, -1, vcc
	v_cmp_eq_u32_e32 vcc, s31, v7
	v_add_co_u32_e64 v15, s[0:1], 2, v11
	v_add_co_u32_e64 v16, s[0:1], 1, v11
	v_cndmask_b32_e32 v7, v13, v9, vcc
	v_cmp_ne_u32_e32 vcc, 0, v12
	v_cndmask_b32_e32 v9, v16, v15, vcc
	v_cmp_ne_u32_e32 vcc, 0, v7
	v_cndmask_b32_e32 v7, v11, v9, vcc
	v_xor_b32_e32 v9, s20, v10
	v_xor_b32_e32 v7, v7, v9
	v_sub_co_u32_e32 v12, vcc, v7, v9
.LBB1_10:
	s_or_saveexec_b64 s[0:1], s[8:9]
	v_mov_b32_e32 v9, v6
	s_xor_b64 exec, exec, s[0:1]
	s_cbranch_execz .LBB1_12
; %bb.11:
	v_cvt_f32_u32_e32 v7, s2
	s_sub_i32 s3, 0, s2
	v_rcp_iflag_f32_e32 v7, v7
	v_mul_f32_e32 v7, 0x4f7ffffe, v7
	v_cvt_u32_f32_e32 v7, v7
	v_mul_lo_u32 v10, s3, v7
	v_mul_hi_u32 v10, v7, v10
	v_add_u32_e32 v7, v7, v10
	v_mul_hi_u32 v7, v9, v7
	v_mul_lo_u32 v10, v7, s2
	v_sub_u32_e32 v10, v9, v10
	v_add_u32_e32 v11, 1, v7
	v_subrev_u32_e32 v12, s2, v10
	v_cmp_le_u32_e32 vcc, s2, v10
	v_cndmask_b32_e32 v10, v10, v12, vcc
	v_cndmask_b32_e32 v7, v7, v11, vcc
	v_add_u32_e32 v11, 1, v7
	v_cmp_le_u32_e32 vcc, s2, v10
	v_cndmask_b32_e32 v12, v7, v11, vcc
.LBB1_12:
	s_or_b64 exec, exec, s[0:1]
	s_waitcnt lgkmcnt(0)
	s_mul_i32 s20, s34, s6
	s_mul_i32 s6, s28, s27
	s_mul_hi_u32 s8, s28, s26
	s_add_i32 s6, s8, s6
	s_mul_i32 s8, s29, s26
	s_add_i32 s8, s6, s8
	s_mul_i32 s6, s28, s26
	s_mul_i32 s9, s6, s35
	s_mul_hi_u32 s26, s6, s34
	s_add_i32 s9, s26, s9
	s_mul_i32 s8, s8, s34
	s_mul_i32 s26, s6, s34
	s_add_i32 s8, s9, s8
	s_mul_i32 s9, s26, s45
	s_mul_hi_u32 s27, s26, s44
	s_mul_i32 s8, s8, s44
	s_add_i32 s9, s27, s9
	s_mul_i32 s1, s34, s39
	s_mul_i32 s7, s34, s41
	s_add_i32 s9, s9, s8
	s_mul_i32 s8, s26, s44
	s_ashr_i32 s2, s43, 2
	s_ashr_i32 s0, s38, 2
	;; [unrolled: 1-line block ×5, first 2 shown]
	s_lshl_b64 s[8:9], s[8:9], 2
	s_add_u32 s8, s22, s8
	s_addc_u32 s9, s23, s9
	s_add_u32 s1, s10, s1
	v_lshlrev_b64 v[10:11], 2, v[4:5]
	s_addc_u32 s3, s11, s3
	v_mov_b32_e32 v5, s3
	v_add_co_u32_e32 v4, vcc, s1, v10
	s_add_u32 s1, s12, s7
	v_ashrrev_i64 v[8:9], 30, v[8:9]
	v_addc_co_u32_e32 v5, vcc, v5, v11, vcc
	s_addc_u32 s3, s13, s30
	v_mul_lo_u32 v13, v6, s42
	v_mov_b32_e32 v7, s3
	v_add_co_u32_e32 v6, vcc, s1, v8
	v_addc_co_u32_e32 v7, vcc, v7, v9, vcc
	v_ashrrev_i32_e32 v15, 31, v13
	v_mov_b32_e32 v9, s15
	v_add_co_u32_e32 v8, vcc, s14, v13
	v_addc_co_u32_e32 v9, vcc, v9, v15, vcc
	v_mbcnt_lo_u32_b32 v15, -1, 0
	v_mbcnt_hi_u32_b32 v15, -1, v15
	v_mov_b32_e32 v13, s9
	v_add_co_u32_e32 v10, vcc, s8, v10
	v_and_b32_e32 v16, 0x60, v15
	v_addc_co_u32_e32 v11, vcc, v13, v11, vcc
	v_add_u32_e32 v16, 32, v16
	v_xor_b32_e32 v17, 16, v15
	v_cmp_lt_i32_e32 vcc, v17, v16
	v_cndmask_b32_e32 v17, v15, v17, vcc
	v_lshlrev_b32_e32 v29, 2, v17
	v_xor_b32_e32 v17, 8, v15
	v_cmp_lt_i32_e32 vcc, v17, v16
	v_cndmask_b32_e32 v17, v15, v17, vcc
	v_lshlrev_b32_e32 v30, 2, v17
	;; [unrolled: 4-line block ×3, first 2 shown]
	v_xor_b32_e32 v17, 2, v15
	s_ashr_i32 s8, s40, 2
	v_cmp_lt_i32_e32 vcc, v17, v16
	s_mul_i32 s10, s34, s4
	s_ashr_i32 s12, s5, 2
	s_ashr_i32 s9, s8, 31
	;; [unrolled: 1-line block ×3, first 2 shown]
	v_cndmask_b32_e32 v17, v15, v17, vcc
	s_bfe_i64 s[4:5], s[6:7], 0x200000
	s_ashr_i32 s11, s10, 31
	s_ashr_i32 s3, s2, 31
	;; [unrolled: 1-line block ×3, first 2 shown]
	v_lshlrev_b32_e32 v32, 2, v17
	v_xor_b32_e32 v17, 1, v15
	s_lshl_b64 s[4:5], s[4:5], 2
	s_lshl_b64 s[6:7], s[8:9], 2
	;; [unrolled: 1-line block ×3, first 2 shown]
	v_cmp_lt_i32_e32 vcc, v17, v16
	s_add_u32 s0, s16, s10
	v_cndmask_b32_e32 v15, v15, v17, vcc
	s_addc_u32 s1, s17, s11
	v_lshlrev_b32_e32 v33, 2, v15
	v_cmp_eq_u32_e32 vcc, 0, v14
	v_mov_b32_e32 v15, s1
	v_add_co_u32_e64 v14, s[0:1], s0, v20
	v_addc_co_u32_e64 v15, s[0:1], 0, v15, s[0:1]
	s_lshl_b64 s[10:11], s[2:3], 2
	s_add_u32 s0, s18, s20
	s_addc_u32 s1, s19, s21
	v_lshlrev_b32_e32 v12, 10, v12
	v_mov_b32_e32 v17, s1
	v_add_co_u32_e64 v16, s[0:1], s0, v20
	v_ashrrev_i32_e32 v13, 31, v12
	v_addc_co_u32_e64 v17, s[0:1], 0, v17, s[0:1]
	s_lshl_b64 s[12:13], s[12:13], 2
	s_mov_b32 s16, 0x41a00000
	s_mov_b32 s17, 0x3fb8aa3b
	;; [unrolled: 1-line block ×6, first 2 shown]
	v_mov_b32_e32 v34, 0x3f2aaada
	s_mov_b32 s26, 0x3f317218
	s_mov_b32 s27, 0x33800000
	v_mov_b32_e32 v35, 0x7f800000
	v_mov_b32_e32 v18, 0x3f317218
	global_load_dword v19, v[6:7], off
	s_waitcnt vmcnt(0)
	v_cmp_ge_f32_e64 s[0:1], s16, v19
	s_and_saveexec_b64 s[14:15], s[0:1]
	s_cbranch_execz .LBB1_14
.LBB1_13:
	v_mul_f32_e32 v36, 0x3fb8aa3b, v19
	v_rndne_f32_e32 v37, v36
	v_sub_f32_e32 v38, v36, v37
	v_fma_f32 v36, v19, s17, -v36
	v_fmac_f32_e32 v36, 0x32a5705f, v19
	v_add_f32_e32 v36, v38, v36
	v_cvt_i32_f32_e32 v37, v37
	v_exp_f32_e32 v36, v36
	v_cmp_ngt_f32_e64 s[0:1], s18, v19
	v_ldexp_f32 v36, v36, v37
	v_cndmask_b32_e64 v36, 0, v36, s[0:1]
	v_cmp_nlt_f32_e64 s[0:1], s19, v19
	v_cndmask_b32_e64 v52, v35, v36, s[0:1]
	v_add_f32_e32 v19, 1.0, v52
	v_add_f32_e32 v36, -1.0, v19
	v_sub_f32_e32 v37, v36, v19
	v_add_f32_e32 v37, 1.0, v37
	v_sub_f32_e32 v36, v52, v36
	v_add_f32_e32 v38, v36, v37
	v_frexp_mant_f32_e32 v39, v19
	v_cvt_f64_f32_e32 v[36:37], v19
	v_frexp_exp_i32_f64_e32 v36, v[36:37]
	v_cmp_gt_f32_e64 s[0:1], s21, v39
	v_subbrev_co_u32_e64 v44, s[0:1], 0, v36, s[0:1]
	v_sub_u32_e32 v36, 0, v44
	v_ldexp_f32 v19, v19, v36
	v_ldexp_f32 v36, v38, v36
	v_add_f32_e32 v38, -1.0, v19
	v_add_f32_e32 v37, 1.0, v38
	v_sub_f32_e32 v37, v19, v37
	v_add_f32_e32 v39, v36, v37
	v_add_f32_e32 v37, 1.0, v19
	v_add_f32_e32 v40, -1.0, v37
	v_sub_f32_e32 v19, v19, v40
	v_add_f32_e32 v19, v36, v19
	v_add_f32_e32 v45, v37, v19
	v_rcp_f32_e32 v46, v45
	v_sub_f32_e32 v36, v37, v45
	v_add_f32_e32 v37, v38, v39
	v_add_f32_e32 v19, v19, v36
	v_mul_f32_e32 v48, v37, v46
	v_sub_f32_e32 v36, v38, v37
	v_mul_f32_e32 v38, v45, v48
	v_fma_f32 v40, v48, v45, -v38
	v_fmac_f32_e32 v40, v48, v19
	v_add_f32_e32 v47, v39, v36
	v_add_f32_e32 v36, v38, v40
	v_sub_f32_e32 v39, v37, v36
	v_pk_add_f32 v[42:43], v[36:37], v[38:39] neg_lo:[0,1] neg_hi:[0,1]
	v_mov_b32_e32 v41, v36
	v_pk_add_f32 v[36:37], v[42:43], v[40:41] neg_lo:[0,1] neg_hi:[0,1]
	v_add_f32_e32 v37, v47, v37
	v_add_f32_e32 v36, v36, v37
	;; [unrolled: 1-line block ×3, first 2 shown]
	v_mul_f32_e32 v47, v46, v37
	v_mul_f32_e32 v38, v45, v47
	v_fma_f32 v40, v47, v45, -v38
	v_fmac_f32_e32 v40, v47, v19
	v_sub_f32_e32 v19, v39, v37
	v_add_f32_e32 v19, v36, v19
	v_add_f32_e32 v36, v38, v40
	v_sub_f32_e32 v39, v37, v36
	v_pk_add_f32 v[42:43], v[36:37], v[38:39] neg_lo:[0,1] neg_hi:[0,1]
	v_mov_b32_e32 v41, v36
	v_pk_add_f32 v[36:37], v[42:43], v[40:41] neg_lo:[0,1] neg_hi:[0,1]
	v_add_f32_e32 v19, v19, v37
	v_add_f32_e32 v19, v36, v19
	;; [unrolled: 1-line block ×4, first 2 shown]
	v_sub_f32_e32 v36, v37, v48
	v_mul_f32_e32 v19, v46, v19
	v_sub_f32_e32 v36, v47, v36
	v_add_f32_e32 v38, v36, v19
	v_add_f32_e32 v40, v37, v38
	v_cvt_f32_i32_e32 v36, v44
	v_mul_f32_e32 v41, v40, v40
	v_mov_b32_e32 v19, 0x3ecc95a3
	v_sub_f32_e32 v37, v40, v37
	v_fmac_f32_e32 v19, 0x3e9b6dac, v41
	v_sub_f32_e32 v37, v38, v37
	v_fma_f32 v19, v41, v19, v34
	v_ldexp_f32 v42, v37, 1
	v_mul_f32_e32 v37, v40, v41
	v_ldexp_f32 v39, v40, 1
	v_pk_mul_f32 v[40:41], v[36:37], v[18:19]
	v_fma_f32 v38, v36, s26, -v40
	v_fmac_f32_e32 v38, 0xb102e308, v36
	v_pk_add_f32 v[36:37], v[40:41], v[38:39]
	v_sub_f32_e32 v19, v37, v39
	v_sub_f32_e32 v19, v41, v19
	v_add_f32_e32 v43, v42, v19
	v_mov_b32_e32 v42, v40
	v_pk_add_f32 v[40:41], v[36:37], v[40:41] neg_lo:[0,1] neg_hi:[0,1]
	v_pk_add_f32 v[44:45], v[36:37], v[42:43]
	v_mov_b32_e32 v41, v45
	v_mov_b32_e32 v39, v36
	v_pk_add_f32 v[46:47], v[38:39], v[40:41] neg_lo:[0,1] neg_hi:[0,1]
	v_pk_add_f32 v[38:39], v[38:39], v[40:41]
	v_mov_b32_e32 v40, v39
	v_pk_add_f32 v[48:49], v[40:41], v[36:37] neg_lo:[0,1] neg_hi:[0,1]
	v_mov_b32_e32 v19, v48
	v_pk_add_f32 v[50:51], v[44:45], v[18:19] neg_lo:[0,1] neg_hi:[0,1]
	v_mov_b32_e32 v38, v45
	v_mov_b32_e32 v44, v37
	;; [unrolled: 1-line block ×4, first 2 shown]
	v_pk_add_f32 v[38:39], v[38:39], v[44:45] neg_lo:[0,1] neg_hi:[0,1]
	v_mov_b32_e32 v42, v43
	v_mov_b32_e32 v43, v36
	v_pk_add_f32 v[36:37], v[42:43], v[38:39] neg_lo:[0,1] neg_hi:[0,1]
	v_mov_b32_e32 v50, v46
	v_pk_add_f32 v[38:39], v[50:51], v[36:37]
	v_mov_b32_e32 v42, v39
	v_pk_add_f32 v[42:43], v[38:39], v[42:43]
	v_pk_add_f32 v[40:41], v[40:41], v[42:43]
	v_mov_b32_e32 v39, v40
	v_pk_add_f32 v[44:45], v[38:39], v[46:47] neg_lo:[0,1] neg_hi:[0,1]
	v_mov_b32_e32 v37, v42
	v_sub_f32_e32 v19, v38, v44
	v_pk_add_f32 v[36:37], v[36:37], v[44:45] neg_lo:[0,1] neg_hi:[0,1]
	v_sub_f32_e32 v19, v46, v19
	v_add_f32_e32 v19, v36, v19
	v_add_f32_e32 v19, v19, v37
	v_cmp_eq_f32_e64 s[0:1], s20, v52
	v_cmp_gt_f32_e64 s[2:3], s27, v52
	v_add_f32_e32 v19, v40, v19
	s_or_b64 s[0:1], s[2:3], s[0:1]
	v_cndmask_b32_e64 v19, v19, v52, s[0:1]
.LBB1_14:                               ; =>This Inner Loop Header: Depth=1
	s_or_b64 exec, exec, s[14:15]
	global_load_dword v38, v[8:9], off
	global_load_dword v39, v[4:5], off
	v_add_co_u32_e64 v36, s[0:1], v14, v12
	v_addc_co_u32_e64 v37, s[0:1], v15, v13, s[0:1]
	global_load_dword v40, v[36:37], off
	global_load_dword v41, v[36:37], off offset:128
	global_load_dword v43, v[36:37], off offset:256
	;; [unrolled: 1-line block ×7, first 2 shown]
	v_add_co_u32_e64 v36, s[0:1], v16, v12
	v_addc_co_u32_e64 v37, s[0:1], v17, v13, s[0:1]
	global_load_dword v49, v[36:37], off
	global_load_dword v50, v[36:37], off offset:128
	global_load_dword v51, v[36:37], off offset:256
	global_load_dword v52, v[36:37], off offset:384
	global_load_dword v53, v[36:37], off offset:512
	global_load_dword v54, v[36:37], off offset:640
	global_load_dword v55, v[36:37], off offset:768
	global_load_dword v56, v[36:37], off offset:896
	s_waitcnt vmcnt(17)
	v_mul_f32_e32 v57, v19, v38
	s_waitcnt vmcnt(16)
	v_mul_f32_e32 v36, v19, v39
	v_mul_f32_e32 v38, 0x3fb8aa3b, v57
	s_waitcnt vmcnt(15)
	v_mul_f32_e32 v42, v36, v40
	s_waitcnt vmcnt(13)
	v_mul_f32_e32 v39, v36, v43
	v_fma_f32 v40, v57, s17, -v38
	v_rndne_f32_e32 v43, v38
	v_fmac_f32_e32 v40, 0x32a5705f, v57
	v_sub_f32_e32 v38, v38, v43
	v_add_f32_e32 v38, v38, v40
	s_waitcnt vmcnt(12)
	v_mul_f32_e32 v37, v36, v44
	v_cvt_i32_f32_e32 v43, v43
	v_exp_f32_e32 v44, v38
	v_cmp_ngt_f32_e64 s[0:1], s18, v57
	v_mul_f32_e32 v41, v36, v41
	s_waitcnt vmcnt(11)
	v_mul_f32_e32 v19, v36, v45
	v_ldexp_f32 v43, v44, v43
	v_cndmask_b32_e64 v43, 0, v43, s[0:1]
	v_cmp_nlt_f32_e64 s[0:1], s19, v57
	v_cndmask_b32_e64 v43, v35, v43, s[0:1]
	v_fmac_f32_e32 v42, v43, v21
	v_fmac_f32_e32 v41, v43, v22
	s_waitcnt vmcnt(7)
	v_fma_f32 v21, v49, v42, 0
	v_fmac_f32_e32 v39, v43, v23
	s_waitcnt vmcnt(6)
	v_fmac_f32_e32 v21, v50, v41
	v_fmac_f32_e32 v37, v43, v24
	s_waitcnt vmcnt(5)
	v_fmac_f32_e32 v21, v51, v39
	v_mul_f32_e32 v40, v36, v46
	v_fmac_f32_e32 v19, v43, v26
	s_waitcnt vmcnt(4)
	v_fmac_f32_e32 v21, v52, v37
	v_mul_f32_e32 v38, v36, v47
	;; [unrolled: 4-line block ×3, first 2 shown]
	v_fmac_f32_e32 v38, v43, v28
	s_waitcnt vmcnt(2)
	v_fmac_f32_e32 v21, v54, v40
	s_waitcnt vmcnt(1)
	v_fmac_f32_e32 v21, v55, v38
	v_fmac_f32_e32 v36, v43, v25
	s_waitcnt vmcnt(0)
	v_fmac_f32_e32 v21, v56, v36
	ds_bpermute_b32 v22, v29, v21
	s_waitcnt lgkmcnt(0)
	v_add_f32_e32 v21, v21, v22
	ds_bpermute_b32 v22, v30, v21
	s_waitcnt lgkmcnt(0)
	v_add_f32_e32 v21, v21, v22
	;; [unrolled: 3-line block ×4, first 2 shown]
	ds_bpermute_b32 v22, v33, v21
	s_and_saveexec_b64 s[0:1], vcc
	s_cbranch_execz .LBB1_16
; %bb.15:                               ;   in Loop: Header=BB1_14 Depth=1
	s_waitcnt lgkmcnt(0)
	v_add_f32_e32 v21, v21, v22
	global_store_dword v[10:11], v21, off
.LBB1_16:                               ;   in Loop: Header=BB1_14 Depth=1
	s_or_b64 exec, exec, s[0:1]
	v_mov_b32_e32 v21, s5
	v_add_co_u32_e64 v10, s[0:1], s4, v10
	v_addc_co_u32_e64 v11, s[0:1], v11, v21, s[0:1]
	v_mov_b32_e32 v21, s7
	v_add_co_u32_e64 v6, s[0:1], s6, v6
	v_addc_co_u32_e64 v7, s[0:1], v7, v21, s[0:1]
	;; [unrolled: 3-line block ×3, first 2 shown]
	v_mov_b32_e32 v21, s11
	v_add_co_u32_e64 v14, s[0:1], s10, v14
	s_add_u32 s44, s44, -1
	v_addc_co_u32_e64 v15, s[0:1], v15, v21, s[0:1]
	s_addc_u32 s45, s45, -1
	v_mov_b32_e32 v21, s13
	v_add_co_u32_e64 v16, s[0:1], s12, v16
	s_cmp_eq_u64 s[44:45], 0
	v_addc_co_u32_e64 v17, s[0:1], v17, v21, s[0:1]
	s_cbranch_scc1 .LBB1_19
; %bb.17:                               ;   in Loop: Header=BB1_14 Depth=1
	v_mov_b32_e32 v21, v42
	s_waitcnt lgkmcnt(0)
	v_mov_b32_e32 v22, v41
	v_mov_b32_e32 v23, v39
	;; [unrolled: 1-line block ×7, first 2 shown]
	global_load_dword v19, v[6:7], off
	s_waitcnt vmcnt(0)
	v_cmp_ge_f32_e64 s[0:1], s16, v19
	s_and_saveexec_b64 s[14:15], s[0:1]
	s_cbranch_execnz .LBB1_13
	s_branch .LBB1_14
.LBB1_18:
	s_waitcnt vmcnt(0)
	v_mov_b32_e32 v36, v25
	v_mov_b32_e32 v38, v28
	;; [unrolled: 1-line block ×8, first 2 shown]
.LBB1_19:
	s_add_u32 s0, s22, s24
	s_mul_i32 s2, s34, s37
	s_addc_u32 s1, s23, s25
	s_ashr_i32 s3, s2, 31
	s_add_u32 s0, s0, s2
	s_addc_u32 s1, s1, s3
	v_mov_b32_e32 v4, s1
	v_add_co_u32_e32 v0, vcc, s0, v0
	v_addc_co_u32_e32 v1, vcc, v4, v1, vcc
	v_add_co_u32_e32 v0, vcc, v0, v2
	v_addc_co_u32_e32 v1, vcc, v1, v3, vcc
	;; [unrolled: 2-line block ×3, first 2 shown]
	global_store_dword v[0:1], v42, off
	global_store_dword v[0:1], v41, off offset:128
	global_store_dword v[0:1], v39, off offset:256
	;; [unrolled: 1-line block ×7, first 2 shown]
	s_endpgm
.LBB1_20:
                                        ; implicit-def: $sgpr2_sgpr3
	s_load_dwordx4 s[4:7], s[4:5], 0x60
	s_branch .LBB1_7
	.section	.rodata,"a",@progbits
	.p2align	6, 0x0
	.amdhsa_kernel _Z18ssm_scan_f32_groupILi8ELi256EEvPKfS1_S1_S1_S1_S1_PKiPfiiiiiiiiiiilllll
		.amdhsa_group_segment_fixed_size 0
		.amdhsa_private_segment_fixed_size 0
		.amdhsa_kernarg_size 152
		.amdhsa_user_sgpr_count 6
		.amdhsa_user_sgpr_private_segment_buffer 1
		.amdhsa_user_sgpr_dispatch_ptr 0
		.amdhsa_user_sgpr_queue_ptr 0
		.amdhsa_user_sgpr_kernarg_segment_ptr 1
		.amdhsa_user_sgpr_dispatch_id 0
		.amdhsa_user_sgpr_flat_scratch_init 0
		.amdhsa_user_sgpr_kernarg_preload_length 0
		.amdhsa_user_sgpr_kernarg_preload_offset 0
		.amdhsa_user_sgpr_private_segment_size 0
		.amdhsa_uses_dynamic_stack 0
		.amdhsa_system_sgpr_private_segment_wavefront_offset 0
		.amdhsa_system_sgpr_workgroup_id_x 1
		.amdhsa_system_sgpr_workgroup_id_y 1
		.amdhsa_system_sgpr_workgroup_id_z 0
		.amdhsa_system_sgpr_workgroup_info 0
		.amdhsa_system_vgpr_workitem_id 0
		.amdhsa_next_free_vgpr 58
		.amdhsa_next_free_sgpr 50
		.amdhsa_accum_offset 60
		.amdhsa_reserve_vcc 1
		.amdhsa_reserve_flat_scratch 0
		.amdhsa_float_round_mode_32 0
		.amdhsa_float_round_mode_16_64 0
		.amdhsa_float_denorm_mode_32 3
		.amdhsa_float_denorm_mode_16_64 3
		.amdhsa_dx10_clamp 1
		.amdhsa_ieee_mode 1
		.amdhsa_fp16_overflow 0
		.amdhsa_tg_split 0
		.amdhsa_exception_fp_ieee_invalid_op 0
		.amdhsa_exception_fp_denorm_src 0
		.amdhsa_exception_fp_ieee_div_zero 0
		.amdhsa_exception_fp_ieee_overflow 0
		.amdhsa_exception_fp_ieee_underflow 0
		.amdhsa_exception_fp_ieee_inexact 0
		.amdhsa_exception_int_div_zero 0
	.end_amdhsa_kernel
	.section	.text._Z18ssm_scan_f32_groupILi8ELi256EEvPKfS1_S1_S1_S1_S1_PKiPfiiiiiiiiiiilllll,"axG",@progbits,_Z18ssm_scan_f32_groupILi8ELi256EEvPKfS1_S1_S1_S1_S1_PKiPfiiiiiiiiiiilllll,comdat
.Lfunc_end1:
	.size	_Z18ssm_scan_f32_groupILi8ELi256EEvPKfS1_S1_S1_S1_S1_PKiPfiiiiiiiiiiilllll, .Lfunc_end1-_Z18ssm_scan_f32_groupILi8ELi256EEvPKfS1_S1_S1_S1_S1_PKiPfiiiiiiiiiiilllll
                                        ; -- End function
	.section	.AMDGPU.csdata,"",@progbits
; Kernel info:
; codeLenInByte = 4600
; NumSgprs: 54
; NumVgprs: 58
; NumAgprs: 0
; TotalNumVgprs: 58
; ScratchSize: 0
; MemoryBound: 0
; FloatMode: 240
; IeeeMode: 1
; LDSByteSize: 0 bytes/workgroup (compile time only)
; SGPRBlocks: 6
; VGPRBlocks: 7
; NumSGPRsForWavesPerEU: 54
; NumVGPRsForWavesPerEU: 58
; AccumOffset: 60
; Occupancy: 8
; WaveLimiterHint : 1
; COMPUTE_PGM_RSRC2:SCRATCH_EN: 0
; COMPUTE_PGM_RSRC2:USER_SGPR: 6
; COMPUTE_PGM_RSRC2:TRAP_HANDLER: 0
; COMPUTE_PGM_RSRC2:TGID_X_EN: 1
; COMPUTE_PGM_RSRC2:TGID_Y_EN: 1
; COMPUTE_PGM_RSRC2:TGID_Z_EN: 0
; COMPUTE_PGM_RSRC2:TIDIG_COMP_CNT: 0
; COMPUTE_PGM_RSRC3_GFX90A:ACCUM_OFFSET: 14
; COMPUTE_PGM_RSRC3_GFX90A:TG_SPLIT: 0
	.section	.text._Z12ssm_scan_f32ILm128ELm16ELm1EEvPKfS1_S1_S1_S1_S1_PKiPfiiiiiiiiiiilll,"axG",@progbits,_Z12ssm_scan_f32ILm128ELm16ELm1EEvPKfS1_S1_S1_S1_S1_PKiPfiiiiiiiiiiilll,comdat
	.protected	_Z12ssm_scan_f32ILm128ELm16ELm1EEvPKfS1_S1_S1_S1_S1_PKiPfiiiiiiiiiiilll ; -- Begin function _Z12ssm_scan_f32ILm128ELm16ELm1EEvPKfS1_S1_S1_S1_S1_PKiPfiiiiiiiiiiilll
	.globl	_Z12ssm_scan_f32ILm128ELm16ELm1EEvPKfS1_S1_S1_S1_S1_PKiPfiiiiiiiiiiilll
	.p2align	8
	.type	_Z12ssm_scan_f32ILm128ELm16ELm1EEvPKfS1_S1_S1_S1_S1_PKiPfiiiiiiiiiiilll,@function
_Z12ssm_scan_f32ILm128ELm16ELm1EEvPKfS1_S1_S1_S1_S1_PKiPfiiiiiiiiiiilll: ; @_Z12ssm_scan_f32ILm128ELm16ELm1EEvPKfS1_S1_S1_S1_S1_PKiPfiiiiiiiiiiilll
; %bb.0:
	s_load_dwordx16 s[8:23], s[4:5], 0x0
	s_mov_b32 s1, 0
	s_mov_b32 s0, s7
	;; [unrolled: 1-line block ×3, first 2 shown]
	s_lshl_b64 s[2:3], s[6:7], 2
	s_waitcnt lgkmcnt(0)
	s_add_u32 s24, s20, s2
	s_addc_u32 s25, s21, s3
	s_load_dword s7, s[24:25], 0x0
	s_load_dwordx2 s[20:21], s[4:5], 0x40
	s_load_dwordx2 s[2:3], s[4:5], 0x54
	v_mov_b32_e32 v37, 0
	s_waitcnt lgkmcnt(0)
	s_mul_i32 s7, s7, s21
	s_ashr_i32 s24, s7, 31
	s_add_u32 s8, s8, s7
	s_addc_u32 s9, s9, s24
	s_lshl_b32 s25, s0, 7
	s_ashr_i32 s7, s20, 31
	s_mul_i32 s7, s25, s7
	s_mul_hi_u32 s24, s25, s20
	s_lshr_b32 s26, s0, 25
	s_add_i32 s7, s24, s7
	s_mul_i32 s24, s26, s20
	s_add_i32 s7, s7, s24
	s_mul_i32 s24, s25, s20
	s_add_u32 s8, s8, s24
	s_addc_u32 s9, s9, s7
	s_ashr_i32 s27, s3, 31
	s_mul_i32 s27, s25, s27
	s_mul_hi_u32 s28, s25, s3
	s_add_i32 s27, s28, s27
	s_mul_i32 s26, s26, s3
	s_add_i32 s27, s27, s26
	s_mul_i32 s25, s25, s3
	s_add_u32 s14, s14, s25
	s_addc_u32 s15, s15, s27
	s_ashr_i32 s3, s3, 2
	v_mul_lo_u32 v36, s3, v0
	s_ashr_i32 s20, s20, 2
	v_lshlrev_b64 v[2:3], 2, v[36:37]
	v_mov_b32_e32 v1, s15
	v_add_co_u32_e32 v38, vcc, s14, v2
	v_mul_lo_u32 v36, s20, v0
	v_addc_co_u32_e32 v39, vcc, v1, v3, vcc
	v_lshlrev_b64 v[34:35], 2, v[36:37]
	v_mov_b32_e32 v1, s9
	v_add_co_u32_e32 v40, vcc, s8, v34
	v_addc_co_u32_e32 v41, vcc, v1, v35, vcc
	global_load_dwordx4 v[18:21], v[38:39], off offset:48
	global_load_dwordx4 v[22:25], v[38:39], off offset:32
	;; [unrolled: 1-line block ×3, first 2 shown]
	global_load_dwordx4 v[30:33], v[38:39], off
	global_load_dwordx4 v[2:5], v[40:41], off offset:48
	global_load_dwordx4 v[6:9], v[40:41], off offset:32
	;; [unrolled: 1-line block ×3, first 2 shown]
	global_load_dwordx4 v[14:17], v[40:41], off
	v_cmp_lt_u32_e32 vcc, 15, v0
	s_and_saveexec_b64 s[8:9], vcc
	s_xor_b64 s[8:9], exec, s[8:9]
; %bb.1:
	v_mov_b32_e32 v1, v37
; %bb.2:
	s_andn2_saveexec_b64 s[8:9], s[8:9]
	s_cbranch_execz .LBB2_4
; %bb.3:
	s_load_dword s3, s[4:5], 0x68
	s_load_dword s14, s[4:5], 0x60
	v_lshlrev_b32_e32 v36, 2, v0
	v_mov_b32_e32 v1, 0
	s_waitcnt lgkmcnt(0)
	s_mul_i32 s3, s6, s3
	s_mul_i32 s20, s6, s14
	s_add_u32 s14, s18, s3
	s_addc_u32 s15, s19, 0
	s_add_u32 s16, s16, s20
	s_addc_u32 s17, s17, 0
	global_load_dword v37, v36, s[16:17]
	global_load_dword v38, v36, s[14:15]
	s_waitcnt vmcnt(0)
	ds_write2_b32 v36, v37, v38 offset1:16
.LBB2_4:
	s_or_b64 exec, exec, s[8:9]
	s_lshl_b64 s[8:9], s[0:1], 9
	s_mul_i32 s0, s6, s2
	s_add_u32 s0, s12, s0
	s_addc_u32 s1, s13, 0
	s_add_u32 s0, s0, s8
	s_addc_u32 s1, s1, s9
	v_lshlrev_b64 v[0:1], 2, v[0:1]
	v_mov_b32_e32 v37, s1
	v_add_co_u32_e32 v36, vcc, s0, v0
	v_addc_co_u32_e32 v37, vcc, v37, v1, vcc
	s_waitcnt lgkmcnt(0)
	s_barrier
	global_load_dword v36, v[36:37], off
	s_mov_b32 s0, 0x41a00000
	s_waitcnt vmcnt(0)
	v_cmp_ge_f32_e32 vcc, s0, v36
	s_and_saveexec_b64 s[2:3], vcc
	s_cbranch_execz .LBB2_6
; %bb.5:
	v_mul_f32_e32 v37, 0x3fb8aa3b, v36
	s_mov_b32 s0, 0x3fb8aa3b
	v_rndne_f32_e32 v38, v37
	v_sub_f32_e32 v39, v37, v38
	v_fma_f32 v37, v36, s0, -v37
	v_fmac_f32_e32 v37, 0x32a5705f, v36
	v_add_f32_e32 v37, v39, v37
	v_exp_f32_e32 v37, v37
	v_cvt_i32_f32_e32 v38, v38
	s_mov_b32 s0, 0xc2ce8ed0
	v_cmp_ngt_f32_e32 vcc, s0, v36
	s_mov_b32 s0, 0x42b17218
	v_ldexp_f32 v37, v37, v38
	v_cndmask_b32_e32 v37, 0, v37, vcc
	v_mov_b32_e32 v38, 0x7f800000
	v_cmp_nlt_f32_e32 vcc, s0, v36
	v_cndmask_b32_e32 v52, v38, v37, vcc
	v_add_f32_e32 v38, 1.0, v52
	v_add_f32_e32 v36, -1.0, v38
	v_sub_f32_e32 v37, v36, v38
	v_add_f32_e32 v37, 1.0, v37
	v_sub_f32_e32 v36, v52, v36
	v_add_f32_e32 v39, v36, v37
	v_frexp_mant_f32_e32 v40, v38
	s_mov_b32 s0, 0x3f2aaaab
	v_cvt_f64_f32_e32 v[36:37], v38
	v_frexp_exp_i32_f64_e32 v36, v[36:37]
	v_cmp_gt_f32_e32 vcc, s0, v40
	v_subbrev_co_u32_e32 v44, vcc, 0, v36, vcc
	v_sub_u32_e32 v36, 0, v44
	v_ldexp_f32 v37, v38, v36
	v_add_f32_e32 v38, -1.0, v37
	v_add_f32_e32 v40, 1.0, v37
	v_ldexp_f32 v36, v39, v36
	v_add_f32_e32 v39, 1.0, v38
	v_add_f32_e32 v41, -1.0, v40
	v_sub_f32_e32 v39, v37, v39
	v_sub_f32_e32 v37, v37, v41
	v_add_f32_e32 v39, v36, v39
	v_add_f32_e32 v36, v36, v37
	;; [unrolled: 1-line block ×3, first 2 shown]
	v_rcp_f32_e32 v47, v45
	v_sub_f32_e32 v37, v40, v45
	v_add_f32_e32 v46, v36, v37
	v_add_f32_e32 v37, v38, v39
	v_mul_f32_e32 v49, v37, v47
	v_sub_f32_e32 v36, v38, v37
	v_mul_f32_e32 v38, v45, v49
	v_fma_f32 v40, v49, v45, -v38
	v_fmac_f32_e32 v40, v49, v46
	v_add_f32_e32 v48, v39, v36
	v_add_f32_e32 v36, v38, v40
	v_sub_f32_e32 v39, v37, v36
	v_pk_add_f32 v[42:43], v[36:37], v[38:39] neg_lo:[0,1] neg_hi:[0,1]
	v_mov_b32_e32 v41, v36
	v_pk_add_f32 v[36:37], v[42:43], v[40:41] neg_lo:[0,1] neg_hi:[0,1]
	v_add_f32_e32 v37, v48, v37
	v_add_f32_e32 v36, v36, v37
	;; [unrolled: 1-line block ×3, first 2 shown]
	v_mul_f32_e32 v48, v47, v37
	v_mul_f32_e32 v38, v45, v48
	v_fma_f32 v40, v48, v45, -v38
	v_fmac_f32_e32 v40, v48, v46
	v_sub_f32_e32 v39, v39, v37
	v_add_f32_e32 v45, v36, v39
	v_add_f32_e32 v36, v38, v40
	v_sub_f32_e32 v39, v37, v36
	v_pk_add_f32 v[42:43], v[36:37], v[38:39] neg_lo:[0,1] neg_hi:[0,1]
	v_mov_b32_e32 v41, v36
	v_pk_add_f32 v[36:37], v[42:43], v[40:41] neg_lo:[0,1] neg_hi:[0,1]
	v_add_f32_e32 v37, v45, v37
	v_add_f32_e32 v36, v36, v37
	;; [unrolled: 1-line block ×4, first 2 shown]
	v_sub_f32_e32 v37, v39, v49
	v_mul_f32_e32 v36, v47, v36
	v_sub_f32_e32 v37, v48, v37
	v_add_f32_e32 v36, v37, v36
	v_add_f32_e32 v40, v39, v36
	v_mul_f32_e32 v42, v40, v40
	v_mov_b32_e32 v38, 0x3ecc95a3
	v_fmac_f32_e32 v38, 0x3e9b6dac, v42
	v_mov_b32_e32 v37, 0x3f2aaada
	v_fmac_f32_e32 v37, v42, v38
	v_cvt_f32_i32_e32 v38, v44
	v_sub_f32_e32 v39, v40, v39
	v_sub_f32_e32 v36, v36, v39
	v_ldexp_f32 v43, v36, 1
	v_mul_f32_e32 v39, v40, v42
	v_mov_b32_e32 v36, 0x3f317218
	s_mov_b32 s0, 0x3f317218
	v_pk_mul_f32 v[36:37], v[38:39], v[36:37]
	v_ldexp_f32 v41, v40, 1
	v_fma_f32 v40, v38, s0, -v36
	v_fmac_f32_e32 v40, 0xb102e308, v38
	v_pk_add_f32 v[38:39], v[36:37], v[40:41]
	v_sub_f32_e32 v41, v39, v41
	v_sub_f32_e32 v41, v37, v41
	v_add_f32_e32 v43, v43, v41
	v_mov_b32_e32 v42, v36
	v_pk_add_f32 v[36:37], v[38:39], v[36:37] neg_lo:[0,1] neg_hi:[0,1]
	v_pk_add_f32 v[44:45], v[38:39], v[42:43]
	v_mov_b32_e32 v37, v45
	v_mov_b32_e32 v41, v38
	v_pk_add_f32 v[46:47], v[40:41], v[36:37] neg_lo:[0,1] neg_hi:[0,1]
	v_pk_add_f32 v[36:37], v[40:41], v[36:37]
	v_mov_b32_e32 v40, v37
	v_pk_add_f32 v[48:49], v[40:41], v[38:39] neg_lo:[0,1] neg_hi:[0,1]
	v_mov_b32_e32 v41, v48
	v_pk_add_f32 v[50:51], v[44:45], v[40:41] neg_lo:[0,1] neg_hi:[0,1]
	v_mov_b32_e32 v36, v45
	v_mov_b32_e32 v44, v39
	;; [unrolled: 1-line block ×4, first 2 shown]
	v_pk_add_f32 v[36:37], v[36:37], v[44:45] neg_lo:[0,1] neg_hi:[0,1]
	v_mov_b32_e32 v42, v43
	v_mov_b32_e32 v43, v38
	v_pk_add_f32 v[36:37], v[42:43], v[36:37] neg_lo:[0,1] neg_hi:[0,1]
	v_mov_b32_e32 v50, v46
	v_pk_add_f32 v[38:39], v[50:51], v[36:37]
	v_mov_b32_e32 v42, v39
	v_pk_add_f32 v[42:43], v[38:39], v[42:43]
	v_pk_add_f32 v[40:41], v[40:41], v[42:43]
	v_mov_b32_e32 v39, v40
	v_pk_add_f32 v[44:45], v[38:39], v[46:47] neg_lo:[0,1] neg_hi:[0,1]
	v_mov_b32_e32 v37, v42
	v_sub_f32_e32 v38, v38, v44
	v_pk_add_f32 v[36:37], v[36:37], v[44:45] neg_lo:[0,1] neg_hi:[0,1]
	v_sub_f32_e32 v38, v46, v38
	s_mov_b32 s1, 0x7f800000
	v_add_f32_e32 v36, v36, v38
	s_mov_b32 s0, 0x33800000
	v_add_f32_e32 v36, v36, v37
	v_cmp_eq_f32_e32 vcc, s1, v52
	v_cmp_gt_f32_e64 s[0:1], s0, v52
	v_add_f32_e32 v36, v40, v36
	s_or_b64 vcc, s[0:1], vcc
	v_cndmask_b32_e32 v36, v36, v52, vcc
.LBB2_6:
	s_or_b64 exec, exec, s[2:3]
	s_load_dwordx4 s[0:3], s[4:5], 0x70
	s_load_dword s12, s[4:5], 0x4c
	s_mul_i32 s4, s6, s21
	v_mov_b32_e32 v58, 0
	s_waitcnt lgkmcnt(0)
	s_add_u32 s0, s22, s0
	s_addc_u32 s1, s23, s1
	s_add_u32 s0, s0, s4
	s_addc_u32 s1, s1, 0
	s_mul_i32 s3, s6, s3
	s_mul_hi_u32 s5, s6, s2
	s_add_u32 s13, s0, s24
	s_addc_u32 s7, s1, s7
	s_add_i32 s1, s5, s3
	s_mul_i32 s0, s6, s2
	s_lshl_b64 s[0:1], s[0:1], 2
	s_add_u32 s0, s22, s0
	s_addc_u32 s1, s23, s1
	s_add_u32 s14, s0, s8
	s_addc_u32 s15, s1, s9
	s_mul_i32 s0, s6, s12
	s_add_u32 s0, s10, s0
	s_addc_u32 s1, s11, 0
	s_add_u32 s0, s0, s8
	s_addc_u32 s1, s1, s9
	v_mov_b32_e32 v37, s1
	v_add_co_u32_e32 v38, vcc, s0, v0
	v_addc_co_u32_e32 v39, vcc, v37, v1, vcc
	global_load_dword v37, v[38:39], off
	s_mov_b32 s6, 0x3fb8aa3b
	s_mov_b32 s4, 0xc2ce8ed0
	s_mov_b32 s5, 0x42b17218
	ds_read_b128 v[38:41], v58 offset:64
	ds_read_b128 v[42:45], v58 offset:80
	s_waitcnt vmcnt(0)
	v_pk_mul_f32 v[30:31], v[36:37], v[30:31] op_sel_hi:[0,1]
	v_pk_mul_f32 v[50:51], v[36:37], v[32:33] op_sel_hi:[0,1]
	;; [unrolled: 1-line block ×5, first 2 shown]
	v_mul_f32_e32 v18, 0x3fb8aa3b, v31
	v_mul_f32_e32 v19, 0x3fb8aa3b, v30
	v_pk_mul_f32 v[56:57], v[36:37], v[28:29] op_sel_hi:[0,1]
	v_pk_mul_f32 v[32:33], v[36:37], v[22:23] op_sel_hi:[0,1]
	;; [unrolled: 1-line block ×3, first 2 shown]
	v_mul_f32_e32 v20, 0x3fb8aa3b, v51
	v_fma_f32 v28, v31, s6, -v18
	v_rndne_f32_e32 v46, v18
	v_fma_f32 v47, v30, s6, -v19
	v_rndne_f32_e32 v48, v19
	v_mul_f32_e32 v21, 0x3fb8aa3b, v50
	v_fma_f32 v49, v51, s6, -v20
	v_rndne_f32_e32 v52, v20
	v_fmac_f32_e32 v28, 0x32a5705f, v31
	v_sub_f32_e32 v18, v18, v46
	v_fmac_f32_e32 v47, 0x32a5705f, v30
	v_sub_f32_e32 v19, v19, v48
	v_fma_f32 v53, v50, s6, -v21
	v_add_f32_e32 v18, v18, v28
	v_rndne_f32_e32 v28, v21
	v_fmac_f32_e32 v49, 0x32a5705f, v51
	v_sub_f32_e32 v20, v20, v52
	v_add_f32_e32 v19, v19, v47
	v_cvt_i32_f32_e32 v46, v46
	v_cvt_i32_f32_e32 v48, v48
	v_fmac_f32_e32 v53, 0x32a5705f, v50
	v_sub_f32_e32 v21, v21, v28
	v_add_f32_e32 v20, v20, v49
	v_exp_f32_e32 v18, v18
	v_exp_f32_e32 v19, v19
	v_cvt_i32_f32_e32 v52, v52
	v_add_f32_e32 v21, v21, v53
	v_exp_f32_e32 v20, v20
	v_cvt_i32_f32_e32 v28, v28
	v_exp_f32_e32 v53, v21
	v_ldexp_f32 v18, v18, v46
	v_ldexp_f32 v19, v19, v48
	v_cmp_ngt_f32_e32 vcc, s4, v31
	v_cmp_ngt_f32_e64 s[0:1], s4, v30
	v_mov_b32_e32 v29, 0x7f800000
	v_ldexp_f32 v52, v20, v52
	v_cndmask_b32_e32 v59, 0, v18, vcc
	v_cmp_nlt_f32_e32 vcc, s5, v31
	v_cndmask_b32_e64 v60, 0, v19, s[0:1]
	ds_read_b128 v[18:21], v58
	ds_read_b128 v[46:49], v58 offset:16
	v_cmp_ngt_f32_e64 s[2:3], s4, v51
	v_ldexp_f32 v28, v53, v28
	v_cndmask_b32_e64 v52, 0, v52, s[2:3]
	v_cmp_ngt_f32_e64 s[2:3], s4, v50
	v_cndmask_b32_e32 v31, v29, v59, vcc
	v_cmp_nlt_f32_e32 vcc, s5, v51
	v_cndmask_b32_e64 v28, 0, v28, s[2:3]
	v_cndmask_b32_e32 v51, v29, v52, vcc
	v_cmp_nlt_f32_e32 vcc, s5, v50
	v_cmp_nlt_f32_e64 s[0:1], s5, v30
	v_cndmask_b32_e32 v50, v29, v28, vcc
	v_mul_f32_e32 v28, v36, v37
	v_cndmask_b32_e64 v30, v29, v60, s[0:1]
	s_waitcnt lgkmcnt(1)
	v_pk_mul_f32 v[18:19], v[28:29], v[18:19] op_sel_hi:[0,1]
	v_pk_fma_f32 v[14:15], v[14:15], v[30:31], v[18:19]
	v_mov_b32_e32 v31, s15
	v_add_co_u32_e32 v30, vcc, s14, v0
	v_addc_co_u32_e32 v31, vcc, v31, v1, vcc
	v_mov_b32_e32 v1, s7
	v_add_co_u32_e32 v0, vcc, s13, v34
	v_mul_f32_e32 v34, 0x3fb8aa3b, v55
	v_addc_co_u32_e32 v1, vcc, v1, v35, vcc
	v_fma_f32 v35, v55, s6, -v34
	v_rndne_f32_e32 v36, v34
	v_fmac_f32_e32 v35, 0x32a5705f, v55
	v_sub_f32_e32 v34, v34, v36
	v_add_f32_e32 v34, v34, v35
	v_exp_f32_e32 v34, v34
	v_cvt_i32_f32_e32 v35, v36
	v_cmp_ngt_f32_e32 vcc, s4, v55
	v_pk_mul_f32 v[20:21], v[28:29], v[20:21] op_sel_hi:[0,1]
	v_fma_f32 v59, v38, v14, 0
	v_ldexp_f32 v34, v34, v35
	v_mul_f32_e32 v35, 0x3fb8aa3b, v54
	v_fma_f32 v36, v54, s6, -v35
	v_rndne_f32_e32 v37, v35
	v_fmac_f32_e32 v36, 0x32a5705f, v54
	v_sub_f32_e32 v35, v35, v37
	v_add_f32_e32 v35, v35, v36
	v_exp_f32_e32 v35, v35
	v_cvt_i32_f32_e32 v36, v37
	v_cndmask_b32_e32 v34, 0, v34, vcc
	v_cmp_nlt_f32_e32 vcc, s5, v55
	v_cndmask_b32_e32 v55, v29, v34, vcc
	v_ldexp_f32 v34, v35, v36
	v_mul_f32_e32 v35, 0x3fb8aa3b, v57
	v_fma_f32 v36, v57, s6, -v35
	v_rndne_f32_e32 v37, v35
	v_fmac_f32_e32 v36, 0x32a5705f, v57
	v_sub_f32_e32 v35, v35, v37
	v_add_f32_e32 v35, v35, v36
	v_exp_f32_e32 v35, v35
	v_cvt_i32_f32_e32 v36, v37
	v_cmp_ngt_f32_e32 vcc, s4, v54
	v_cndmask_b32_e32 v34, 0, v34, vcc
	v_cmp_nlt_f32_e32 vcc, s5, v54
	v_cndmask_b32_e32 v54, v29, v34, vcc
	v_ldexp_f32 v34, v35, v36
	v_mul_f32_e32 v35, 0x3fb8aa3b, v56
	v_fma_f32 v36, v56, s6, -v35
	v_rndne_f32_e32 v37, v35
	v_fmac_f32_e32 v36, 0x32a5705f, v56
	v_sub_f32_e32 v35, v35, v37
	v_add_f32_e32 v35, v35, v36
	v_exp_f32_e32 v35, v35
	v_cvt_i32_f32_e32 v36, v37
	v_cmp_ngt_f32_e32 vcc, s4, v57
	v_pk_fma_f32 v[16:17], v[16:17], v[50:51], v[20:21]
	v_fmac_f32_e32 v59, v39, v15
	v_cndmask_b32_e32 v34, 0, v34, vcc
	v_cmp_nlt_f32_e32 vcc, s5, v57
	v_fmac_f32_e32 v59, v40, v16
	s_waitcnt lgkmcnt(0)
	v_pk_mul_f32 v[46:47], v[28:29], v[46:47] op_sel_hi:[0,1]
	v_cndmask_b32_e32 v57, v29, v34, vcc
	v_ldexp_f32 v34, v35, v36
	v_cmp_ngt_f32_e32 vcc, s4, v56
	v_fmac_f32_e32 v59, v41, v17
	v_cndmask_b32_e32 v34, 0, v34, vcc
	v_cmp_nlt_f32_e32 vcc, s5, v56
	v_pk_fma_f32 v[10:11], v[10:11], v[54:55], v[46:47]
	v_cndmask_b32_e32 v56, v29, v34, vcc
	v_pk_mul_f32 v[48:49], v[28:29], v[48:49] op_sel_hi:[0,1]
	v_fmac_f32_e32 v59, v42, v10
	v_mul_f32_e32 v42, 0x3fb8aa3b, v33
	v_pk_fma_f32 v[12:13], v[12:13], v[56:57], v[48:49]
	v_fma_f32 v46, v33, s6, -v42
	v_rndne_f32_e32 v47, v42
	v_fmac_f32_e32 v59, v43, v11
	v_fmac_f32_e32 v46, 0x32a5705f, v33
	v_sub_f32_e32 v42, v42, v47
	v_fmac_f32_e32 v59, v44, v12
	v_mul_f32_e32 v43, 0x3fb8aa3b, v32
	v_add_f32_e32 v42, v42, v46
	v_fmac_f32_e32 v59, v45, v13
	v_fma_f32 v44, v32, s6, -v43
	v_rndne_f32_e32 v45, v43
	v_exp_f32_e32 v42, v42
	v_cvt_i32_f32_e32 v46, v47
	v_fmac_f32_e32 v44, 0x32a5705f, v32
	v_sub_f32_e32 v43, v43, v45
	v_add_f32_e32 v43, v43, v44
	v_exp_f32_e32 v43, v43
	v_cvt_i32_f32_e32 v44, v45
	v_ldexp_f32 v42, v42, v46
	v_cmp_ngt_f32_e32 vcc, s4, v33
	ds_read_b128 v[50:53], v58 offset:96
	ds_read_b128 v[18:21], v58 offset:112
	;; [unrolled: 1-line block ×4, first 2 shown]
	v_cndmask_b32_e32 v42, 0, v42, vcc
	v_cmp_nlt_f32_e32 vcc, s5, v33
	v_cndmask_b32_e32 v33, v29, v42, vcc
	v_ldexp_f32 v42, v43, v44
	v_cmp_ngt_f32_e32 vcc, s4, v32
	v_cndmask_b32_e32 v42, 0, v42, vcc
	v_cmp_nlt_f32_e32 vcc, s5, v32
	v_cndmask_b32_e32 v32, v29, v42, vcc
	v_mul_f32_e32 v42, 0x3fb8aa3b, v27
	s_waitcnt lgkmcnt(1)
	v_pk_mul_f32 v[34:35], v[28:29], v[34:35] op_sel_hi:[0,1]
	v_fma_f32 v43, v27, s6, -v42
	v_rndne_f32_e32 v44, v42
	v_fmac_f32_e32 v43, 0x32a5705f, v27
	v_sub_f32_e32 v42, v42, v44
	v_pk_fma_f32 v[6:7], v[6:7], v[32:33], v[34:35]
	v_mul_f32_e32 v33, 0x3fb8aa3b, v26
	v_add_f32_e32 v42, v42, v43
	v_fma_f32 v34, v26, s6, -v33
	v_rndne_f32_e32 v35, v33
	v_exp_f32_e32 v42, v42
	v_cvt_i32_f32_e32 v43, v44
	v_fmac_f32_e32 v34, 0x32a5705f, v26
	v_sub_f32_e32 v33, v33, v35
	v_add_f32_e32 v33, v33, v34
	v_exp_f32_e32 v33, v33
	v_cvt_i32_f32_e32 v34, v35
	v_ldexp_f32 v32, v42, v43
	v_cmp_ngt_f32_e32 vcc, s4, v27
	v_cndmask_b32_e32 v32, 0, v32, vcc
	v_cmp_nlt_f32_e32 vcc, s5, v27
	v_cndmask_b32_e32 v27, v29, v32, vcc
	v_ldexp_f32 v32, v33, v34
	v_cmp_ngt_f32_e32 vcc, s4, v26
	v_cndmask_b32_e32 v32, 0, v32, vcc
	v_cmp_nlt_f32_e32 vcc, s5, v26
	v_mul_f32_e32 v34, 0x3fb8aa3b, v25
	v_cndmask_b32_e32 v26, v29, v32, vcc
	v_pk_mul_f32 v[32:33], v[28:29], v[36:37] op_sel_hi:[0,1]
	v_fma_f32 v35, v25, s6, -v34
	v_rndne_f32_e32 v36, v34
	v_fmac_f32_e32 v35, 0x32a5705f, v25
	v_sub_f32_e32 v34, v34, v36
	v_pk_fma_f32 v[8:9], v[8:9], v[26:27], v[32:33]
	v_mul_f32_e32 v27, 0x3fb8aa3b, v24
	v_add_f32_e32 v34, v34, v35
	v_fma_f32 v32, v24, s6, -v27
	v_rndne_f32_e32 v33, v27
	v_exp_f32_e32 v34, v34
	v_cvt_i32_f32_e32 v35, v36
	v_fmac_f32_e32 v32, 0x32a5705f, v24
	v_sub_f32_e32 v27, v27, v33
	v_add_f32_e32 v27, v27, v32
	v_exp_f32_e32 v27, v27
	v_cvt_i32_f32_e32 v32, v33
	v_ldexp_f32 v26, v34, v35
	v_cmp_ngt_f32_e32 vcc, s4, v25
	v_cndmask_b32_e32 v26, 0, v26, vcc
	v_cmp_nlt_f32_e32 vcc, s5, v25
	v_fmac_f32_e32 v59, v50, v6
	v_cndmask_b32_e32 v25, v29, v26, vcc
	v_ldexp_f32 v26, v27, v32
	v_cmp_ngt_f32_e32 vcc, s4, v24
	v_fmac_f32_e32 v59, v51, v7
	v_cndmask_b32_e32 v26, 0, v26, vcc
	v_cmp_nlt_f32_e32 vcc, s5, v24
	v_fmac_f32_e32 v59, v52, v8
	v_cndmask_b32_e32 v24, v29, v26, vcc
	s_waitcnt lgkmcnt(0)
	v_pk_mul_f32 v[26:27], v[28:29], v[38:39] op_sel_hi:[0,1]
	v_fmac_f32_e32 v59, v53, v9
	v_mul_f32_e32 v32, 0x3fb8aa3b, v23
	v_pk_fma_f32 v[2:3], v[2:3], v[24:25], v[26:27]
	v_fma_f32 v33, v23, s6, -v32
	v_rndne_f32_e32 v34, v32
	v_fmac_f32_e32 v59, v18, v2
	v_fmac_f32_e32 v33, 0x32a5705f, v23
	v_sub_f32_e32 v32, v32, v34
	v_fmac_f32_e32 v59, v19, v3
	v_mul_f32_e32 v19, 0x3fb8aa3b, v22
	v_add_f32_e32 v32, v32, v33
	v_fma_f32 v24, v22, s6, -v19
	v_rndne_f32_e32 v25, v19
	v_exp_f32_e32 v32, v32
	v_cvt_i32_f32_e32 v33, v34
	v_fmac_f32_e32 v24, 0x32a5705f, v22
	v_sub_f32_e32 v19, v19, v25
	v_add_f32_e32 v19, v19, v24
	v_exp_f32_e32 v24, v19
	v_cvt_i32_f32_e32 v25, v25
	v_ldexp_f32 v18, v32, v33
	v_cmp_ngt_f32_e32 vcc, s4, v23
	v_cndmask_b32_e32 v18, 0, v18, vcc
	v_cmp_nlt_f32_e32 vcc, s5, v23
	v_cndmask_b32_e32 v19, v29, v18, vcc
	v_ldexp_f32 v18, v24, v25
	v_cmp_ngt_f32_e32 vcc, s4, v22
	v_cndmask_b32_e32 v18, 0, v18, vcc
	v_cmp_nlt_f32_e32 vcc, s5, v22
	v_cndmask_b32_e32 v18, v29, v18, vcc
	v_pk_mul_f32 v[22:23], v[28:29], v[40:41] op_sel_hi:[0,1]
	v_pk_fma_f32 v[4:5], v[4:5], v[18:19], v[22:23]
	v_fmac_f32_e32 v59, v20, v4
	v_fmac_f32_e32 v59, v21, v5
	global_store_dword v[30:31], v59, off
	s_barrier
	global_store_dwordx4 v[0:1], v[14:17], off
	global_store_dwordx4 v[0:1], v[10:13], off offset:16
	global_store_dwordx4 v[0:1], v[6:9], off offset:32
	;; [unrolled: 1-line block ×3, first 2 shown]
	s_endpgm
	.section	.rodata,"a",@progbits
	.p2align	6, 0x0
	.amdhsa_kernel _Z12ssm_scan_f32ILm128ELm16ELm1EEvPKfS1_S1_S1_S1_S1_PKiPfiiiiiiiiiiilll
		.amdhsa_group_segment_fixed_size 128
		.amdhsa_private_segment_fixed_size 0
		.amdhsa_kernarg_size 136
		.amdhsa_user_sgpr_count 6
		.amdhsa_user_sgpr_private_segment_buffer 1
		.amdhsa_user_sgpr_dispatch_ptr 0
		.amdhsa_user_sgpr_queue_ptr 0
		.amdhsa_user_sgpr_kernarg_segment_ptr 1
		.amdhsa_user_sgpr_dispatch_id 0
		.amdhsa_user_sgpr_flat_scratch_init 0
		.amdhsa_user_sgpr_kernarg_preload_length 0
		.amdhsa_user_sgpr_kernarg_preload_offset 0
		.amdhsa_user_sgpr_private_segment_size 0
		.amdhsa_uses_dynamic_stack 0
		.amdhsa_system_sgpr_private_segment_wavefront_offset 0
		.amdhsa_system_sgpr_workgroup_id_x 1
		.amdhsa_system_sgpr_workgroup_id_y 1
		.amdhsa_system_sgpr_workgroup_id_z 0
		.amdhsa_system_sgpr_workgroup_info 0
		.amdhsa_system_vgpr_workitem_id 0
		.amdhsa_next_free_vgpr 61
		.amdhsa_next_free_sgpr 29
		.amdhsa_accum_offset 64
		.amdhsa_reserve_vcc 1
		.amdhsa_reserve_flat_scratch 0
		.amdhsa_float_round_mode_32 0
		.amdhsa_float_round_mode_16_64 0
		.amdhsa_float_denorm_mode_32 3
		.amdhsa_float_denorm_mode_16_64 3
		.amdhsa_dx10_clamp 1
		.amdhsa_ieee_mode 1
		.amdhsa_fp16_overflow 0
		.amdhsa_tg_split 0
		.amdhsa_exception_fp_ieee_invalid_op 0
		.amdhsa_exception_fp_denorm_src 0
		.amdhsa_exception_fp_ieee_div_zero 0
		.amdhsa_exception_fp_ieee_overflow 0
		.amdhsa_exception_fp_ieee_underflow 0
		.amdhsa_exception_fp_ieee_inexact 0
		.amdhsa_exception_int_div_zero 0
	.end_amdhsa_kernel
	.section	.text._Z12ssm_scan_f32ILm128ELm16ELm1EEvPKfS1_S1_S1_S1_S1_PKiPfiiiiiiiiiiilll,"axG",@progbits,_Z12ssm_scan_f32ILm128ELm16ELm1EEvPKfS1_S1_S1_S1_S1_PKiPfiiiiiiiiiiilll,comdat
.Lfunc_end2:
	.size	_Z12ssm_scan_f32ILm128ELm16ELm1EEvPKfS1_S1_S1_S1_S1_PKiPfiiiiiiiiiiilll, .Lfunc_end2-_Z12ssm_scan_f32ILm128ELm16ELm1EEvPKfS1_S1_S1_S1_S1_PKiPfiiiiiiiiiiilll
                                        ; -- End function
	.section	.AMDGPU.csdata,"",@progbits
; Kernel info:
; codeLenInByte = 2916
; NumSgprs: 33
; NumVgprs: 61
; NumAgprs: 0
; TotalNumVgprs: 61
; ScratchSize: 0
; MemoryBound: 0
; FloatMode: 240
; IeeeMode: 1
; LDSByteSize: 128 bytes/workgroup (compile time only)
; SGPRBlocks: 4
; VGPRBlocks: 7
; NumSGPRsForWavesPerEU: 33
; NumVGPRsForWavesPerEU: 61
; AccumOffset: 64
; Occupancy: 8
; WaveLimiterHint : 1
; COMPUTE_PGM_RSRC2:SCRATCH_EN: 0
; COMPUTE_PGM_RSRC2:USER_SGPR: 6
; COMPUTE_PGM_RSRC2:TRAP_HANDLER: 0
; COMPUTE_PGM_RSRC2:TGID_X_EN: 1
; COMPUTE_PGM_RSRC2:TGID_Y_EN: 1
; COMPUTE_PGM_RSRC2:TGID_Z_EN: 0
; COMPUTE_PGM_RSRC2:TIDIG_COMP_CNT: 0
; COMPUTE_PGM_RSRC3_GFX90A:ACCUM_OFFSET: 15
; COMPUTE_PGM_RSRC3_GFX90A:TG_SPLIT: 0
	.section	.text._Z12ssm_scan_f32ILm128ELm16ELm2EEvPKfS1_S1_S1_S1_S1_PKiPfiiiiiiiiiiilll,"axG",@progbits,_Z12ssm_scan_f32ILm128ELm16ELm2EEvPKfS1_S1_S1_S1_S1_PKiPfiiiiiiiiiiilll,comdat
	.protected	_Z12ssm_scan_f32ILm128ELm16ELm2EEvPKfS1_S1_S1_S1_S1_PKiPfiiiiiiiiiiilll ; -- Begin function _Z12ssm_scan_f32ILm128ELm16ELm2EEvPKfS1_S1_S1_S1_S1_PKiPfiiiiiiiiiiilll
	.globl	_Z12ssm_scan_f32ILm128ELm16ELm2EEvPKfS1_S1_S1_S1_S1_PKiPfiiiiiiiiiiilll
	.p2align	8
	.type	_Z12ssm_scan_f32ILm128ELm16ELm2EEvPKfS1_S1_S1_S1_S1_PKiPfiiiiiiiiiiilll,@function
_Z12ssm_scan_f32ILm128ELm16ELm2EEvPKfS1_S1_S1_S1_S1_PKiPfiiiiiiiiiiilll: ; @_Z12ssm_scan_f32ILm128ELm16ELm2EEvPKfS1_S1_S1_S1_S1_PKiPfiiiiiiiiiiilll
; %bb.0:
	s_load_dwordx16 s[8:23], s[4:5], 0x0
	s_load_dwordx8 s[24:31], s[4:5], 0x40
	s_mov_b32 s2, s7
	s_mov_b32 s7, 0
	s_lshl_b64 s[0:1], s[6:7], 2
	s_waitcnt lgkmcnt(0)
	s_add_u32 s0, s20, s0
	s_addc_u32 s1, s21, s1
	s_load_dword s0, s[0:1], 0x0
	v_mov_b32_e32 v3, 0
	s_load_dwordx4 s[40:43], s[4:5], 0x60
	v_lshlrev_b32_e32 v41, 2, v0
	v_add_u32_e32 v43, 64, v41
	s_waitcnt lgkmcnt(0)
	s_mul_i32 s0, s0, s25
	s_ashr_i32 s1, s0, 31
	s_add_u32 s0, s8, s0
	s_addc_u32 s1, s9, s1
	s_lshl_b32 s3, s2, 7
	s_ashr_i32 s8, s24, 31
	s_mul_i32 s8, s3, s8
	s_mul_hi_u32 s9, s3, s24
	s_add_i32 s8, s9, s8
	s_lshr_b32 s9, s2, 25
	s_mul_i32 s20, s9, s24
	s_add_i32 s33, s8, s20
	s_mul_i32 s34, s3, s24
	s_add_u32 s0, s0, s34
	s_addc_u32 s1, s1, s33
	s_ashr_i32 s8, s30, 31
	s_mul_i32 s8, s3, s8
	s_mul_hi_u32 s20, s3, s30
	s_add_i32 s8, s20, s8
	s_mul_i32 s9, s9, s30
	s_add_i32 s8, s8, s9
	s_mul_i32 s3, s3, s30
	s_add_u32 s3, s14, s3
	s_addc_u32 s8, s15, s8
	s_ashr_i32 s14, s30, 2
	v_mul_lo_u32 v2, s14, v0
	s_ashr_i32 s9, s24, 2
	v_lshlrev_b64 v[4:5], 2, v[2:3]
	v_mov_b32_e32 v1, s8
	v_add_co_u32_e32 v36, vcc, s3, v4
	v_mul_lo_u32 v2, s9, v0
	v_addc_co_u32_e32 v37, vcc, v1, v5, vcc
	v_lshlrev_b64 v[34:35], 2, v[2:3]
	v_mov_b32_e32 v1, s1
	v_add_co_u32_e32 v38, vcc, s0, v34
	v_addc_co_u32_e32 v39, vcc, v1, v35, vcc
	global_load_dwordx4 v[2:5], v[36:37], off offset:48
	global_load_dwordx4 v[6:9], v[36:37], off offset:32
	;; [unrolled: 1-line block ×3, first 2 shown]
	global_load_dwordx4 v[14:17], v[36:37], off
	global_load_dwordx4 v[18:21], v[38:39], off offset:48
	global_load_dwordx4 v[22:25], v[38:39], off offset:32
	;; [unrolled: 1-line block ×3, first 2 shown]
	global_load_dwordx4 v[30:33], v[38:39], off
	s_mul_i32 s0, s6, s40
	s_add_u32 s0, s16, s0
	s_mov_b32 s3, s7
	s_mul_i32 s1, s6, s42
	s_addc_u32 s7, s17, 0
	s_add_u32 s8, s18, s1
	v_cmp_gt_u32_e32 vcc, 16, v0
	v_mov_b32_e32 v0, s7
	v_add_co_u32_e64 v36, s[0:1], s0, v41
	s_addc_u32 s9, s19, 0
	v_addc_co_u32_e64 v37, s[0:1], 0, v0, s[0:1]
	v_mov_b32_e32 v1, s9
	v_add_co_u32_e64 v0, s[0:1], s8, v41
	v_addc_co_u32_e64 v1, s[0:1], 0, v1, s[0:1]
	s_and_saveexec_b64 s[0:1], vcc
	s_cbranch_execz .LBB3_2
; %bb.1:
	global_load_dword v38, v[36:37], off
	global_load_dword v39, v[0:1], off
	s_waitcnt vmcnt(1)
	ds_write_b32 v41, v38
	s_waitcnt vmcnt(0)
	ds_write_b32 v43, v39
.LBB3_2:
	s_or_b64 exec, exec, s[0:1]
	s_lshl_b64 s[18:19], s[2:3], 9
	s_mul_i32 s0, s6, s29
	s_add_u32 s0, s12, s0
	s_addc_u32 s1, s13, 0
	s_add_u32 s0, s0, s18
	s_addc_u32 s1, s1, s19
	s_waitcnt lgkmcnt(0)
	s_barrier
	global_load_dword v40, v41, s[0:1]
	v_mov_b32_e32 v38, s1
	v_add_co_u32_e64 v44, s[0:1], s0, v41
	v_addc_co_u32_e64 v45, s[0:1], 0, v38, s[0:1]
	s_mov_b32 s0, 0x41a00000
	s_waitcnt vmcnt(0)
	v_cmp_ge_f32_e64 s[0:1], s0, v40
	s_and_saveexec_b64 s[8:9], s[0:1]
	s_cbranch_execz .LBB3_4
; %bb.3:
	v_mul_f32_e32 v38, 0x3fb8aa3b, v40
	s_mov_b32 s0, 0x3fb8aa3b
	v_rndne_f32_e32 v39, v38
	v_sub_f32_e32 v42, v38, v39
	v_fma_f32 v38, v40, s0, -v38
	v_fmac_f32_e32 v38, 0x32a5705f, v40
	v_add_f32_e32 v38, v42, v38
	v_exp_f32_e32 v38, v38
	v_cvt_i32_f32_e32 v39, v39
	s_mov_b32 s0, 0xc2ce8ed0
	v_cmp_ngt_f32_e64 s[0:1], s0, v40
	s_mov_b32 s2, 0x7f800000
	v_ldexp_f32 v38, v38, v39
	v_cndmask_b32_e64 v38, 0, v38, s[0:1]
	s_mov_b32 s0, 0x42b17218
	v_mov_b32_e32 v39, 0x7f800000
	v_cmp_nlt_f32_e64 s[0:1], s0, v40
	v_cndmask_b32_e64 v58, v39, v38, s[0:1]
	v_add_f32_e32 v40, 1.0, v58
	v_add_f32_e32 v38, -1.0, v40
	v_sub_f32_e32 v39, v38, v40
	v_add_f32_e32 v39, 1.0, v39
	v_sub_f32_e32 v38, v58, v38
	v_add_f32_e32 v42, v38, v39
	v_frexp_mant_f32_e32 v46, v40
	s_mov_b32 s0, 0x3f2aaaab
	v_cvt_f64_f32_e32 v[38:39], v40
	v_frexp_exp_i32_f64_e32 v38, v[38:39]
	v_cmp_gt_f32_e64 s[0:1], s0, v46
	v_subbrev_co_u32_e64 v52, s[0:1], 0, v38, s[0:1]
	v_sub_u32_e32 v38, 0, v52
	v_ldexp_f32 v39, v40, v38
	v_add_f32_e32 v40, -1.0, v39
	v_add_f32_e32 v46, 1.0, v39
	v_ldexp_f32 v38, v42, v38
	v_add_f32_e32 v42, 1.0, v40
	v_add_f32_e32 v47, -1.0, v46
	v_sub_f32_e32 v42, v39, v42
	v_sub_f32_e32 v39, v39, v47
	v_add_f32_e32 v42, v38, v42
	v_add_f32_e32 v38, v38, v39
	;; [unrolled: 1-line block ×3, first 2 shown]
	v_rcp_f32_e32 v55, v53
	v_sub_f32_e32 v39, v46, v53
	v_add_f32_e32 v54, v38, v39
	v_add_f32_e32 v39, v40, v42
	v_sub_f32_e32 v38, v40, v39
	v_add_f32_e32 v40, v42, v38
	v_mul_f32_e32 v42, v39, v55
	v_mul_f32_e32 v46, v53, v42
	v_fma_f32 v48, v42, v53, -v46
	v_fmac_f32_e32 v48, v42, v54
	v_add_f32_e32 v38, v46, v48
	v_sub_f32_e32 v47, v39, v38
	v_pk_add_f32 v[50:51], v[38:39], v[46:47] neg_lo:[0,1] neg_hi:[0,1]
	v_mov_b32_e32 v49, v38
	v_pk_add_f32 v[38:39], v[50:51], v[48:49] neg_lo:[0,1] neg_hi:[0,1]
	v_add_f32_e32 v39, v40, v39
	v_add_f32_e32 v38, v38, v39
	;; [unrolled: 1-line block ×3, first 2 shown]
	v_mul_f32_e32 v40, v55, v39
	v_mul_f32_e32 v46, v53, v40
	v_fma_f32 v48, v40, v53, -v46
	v_fmac_f32_e32 v48, v40, v54
	v_sub_f32_e32 v47, v47, v39
	v_add_f32_e32 v53, v38, v47
	v_add_f32_e32 v38, v46, v48
	v_sub_f32_e32 v47, v39, v38
	v_pk_add_f32 v[50:51], v[38:39], v[46:47] neg_lo:[0,1] neg_hi:[0,1]
	v_mov_b32_e32 v49, v38
	v_pk_add_f32 v[38:39], v[50:51], v[48:49] neg_lo:[0,1] neg_hi:[0,1]
	v_add_f32_e32 v39, v53, v39
	v_add_f32_e32 v38, v38, v39
	;; [unrolled: 1-line block ×4, first 2 shown]
	v_sub_f32_e32 v39, v47, v42
	v_mul_f32_e32 v38, v55, v38
	v_sub_f32_e32 v39, v40, v39
	v_add_f32_e32 v38, v39, v38
	v_add_f32_e32 v40, v47, v38
	v_mul_f32_e32 v42, v40, v40
	v_mov_b32_e32 v46, 0x3ecc95a3
	v_fmac_f32_e32 v46, 0x3e9b6dac, v42
	v_mov_b32_e32 v39, 0x3f2aaada
	v_fmac_f32_e32 v39, v42, v46
	v_cvt_f32_i32_e32 v46, v52
	v_sub_f32_e32 v47, v40, v47
	v_sub_f32_e32 v38, v38, v47
	v_ldexp_f32 v50, v38, 1
	v_mul_f32_e32 v47, v40, v42
	v_mov_b32_e32 v38, 0x3f317218
	s_mov_b32 s0, 0x3f317218
	v_pk_mul_f32 v[38:39], v[46:47], v[38:39]
	v_fma_f32 v48, v46, s0, -v38
	v_ldexp_f32 v49, v40, 1
	v_fmac_f32_e32 v48, 0xb102e308, v46
	v_pk_add_f32 v[46:47], v[38:39], v[48:49]
	v_sub_f32_e32 v40, v47, v49
	v_sub_f32_e32 v40, v39, v40
	v_add_f32_e32 v51, v50, v40
	v_mov_b32_e32 v50, v38
	v_pk_add_f32 v[38:39], v[46:47], v[38:39] neg_lo:[0,1] neg_hi:[0,1]
	v_pk_add_f32 v[52:53], v[46:47], v[50:51]
	v_mov_b32_e32 v39, v53
	v_mov_b32_e32 v49, v46
	v_pk_add_f32 v[54:55], v[48:49], v[38:39] neg_lo:[0,1] neg_hi:[0,1]
	v_pk_add_f32 v[38:39], v[48:49], v[38:39]
	v_mov_b32_e32 v40, v39
	v_pk_add_f32 v[48:49], v[40:41], v[46:47] neg_lo:[0,1] neg_hi:[0,1]
	v_mov_b32_e32 v49, v48
	v_pk_add_f32 v[56:57], v[52:53], v[48:49] neg_lo:[0,1] neg_hi:[0,1]
	v_mov_b32_e32 v38, v53
	v_mov_b32_e32 v52, v47
	;; [unrolled: 1-line block ×4, first 2 shown]
	v_pk_add_f32 v[38:39], v[38:39], v[52:53] neg_lo:[0,1] neg_hi:[0,1]
	v_mov_b32_e32 v48, v51
	v_mov_b32_e32 v49, v46
	v_pk_add_f32 v[38:39], v[48:49], v[38:39] neg_lo:[0,1] neg_hi:[0,1]
	v_mov_b32_e32 v56, v54
	v_pk_add_f32 v[46:47], v[56:57], v[38:39]
	v_mov_b32_e32 v42, v47
	v_pk_add_f32 v[48:49], v[46:47], v[42:43]
	v_pk_add_f32 v[50:51], v[40:41], v[48:49]
	v_mov_b32_e32 v47, v50
	v_pk_add_f32 v[52:53], v[46:47], v[54:55] neg_lo:[0,1] neg_hi:[0,1]
	v_mov_b32_e32 v39, v48
	v_sub_f32_e32 v40, v46, v52
	v_pk_add_f32 v[38:39], v[38:39], v[52:53] neg_lo:[0,1] neg_hi:[0,1]
	v_sub_f32_e32 v40, v54, v40
	v_add_f32_e32 v38, v38, v40
	v_cmp_eq_f32_e64 s[0:1], s2, v58
	s_mov_b32 s2, 0x33800000
	v_add_f32_e32 v38, v38, v39
	v_cmp_gt_f32_e64 s[2:3], s2, v58
	v_add_f32_e32 v38, v50, v38
	s_or_b64 s[0:1], s[2:3], s[0:1]
	v_cndmask_b32_e64 v40, v38, v58, s[0:1]
.LBB3_4:
	s_or_b64 exec, exec, s[8:9]
	s_load_dwordx4 s[36:39], s[4:5], 0x70
	s_mul_i32 s2, s6, s27
	v_pk_mul_f32 v[38:39], v[40:41], v[14:15] op_sel_hi:[0,1]
	s_mov_b32 s27, 0x3fb8aa3b
	v_mul_f32_e32 v55, 0x3fb8aa3b, v38
	s_waitcnt lgkmcnt(0)
	s_mul_i32 s1, s6, s39
	s_mul_hi_u32 s3, s6, s38
	s_mul_i32 s0, s6, s38
	s_add_i32 s1, s3, s1
	s_lshl_b64 s[0:1], s[0:1], 3
	s_add_u32 s30, s22, s0
	s_addc_u32 s29, s23, s1
	s_add_u32 s0, s10, s2
	s_addc_u32 s1, s11, 0
	;; [unrolled: 2-line block ×3, first 2 shown]
	global_load_dword v42, v41, s[20:21]
	s_mov_b32 s7, 0xc2ce8ed0
	s_mov_b32 s24, 0x42b17218
	v_mul_f32_e32 v54, 0x3fb8aa3b, v39
	v_fma_f32 v59, v38, s27, -v55
	v_cmp_ngt_f32_e64 s[12:13], s7, v38
	v_cmp_nlt_f32_e64 s[14:15], s24, v38
	v_fma_f32 v58, v39, s27, -v54
	v_fmac_f32_e32 v59, 0x32a5705f, v38
	v_rndne_f32_e32 v38, v54
	v_cmp_ngt_f32_e64 s[10:11], s7, v39
	v_cmp_nlt_f32_e64 s[16:17], s24, v39
	v_fmac_f32_e32 v58, 0x32a5705f, v39
	v_sub_f32_e32 v39, v54, v38
	v_rndne_f32_e32 v54, v55
	v_pk_mul_f32 v[48:49], v[40:41], v[16:17] op_sel_hi:[0,1]
	v_sub_f32_e32 v55, v55, v54
	v_mul_f32_e32 v56, 0x3fb8aa3b, v49
	v_mul_f32_e32 v57, 0x3fb8aa3b, v48
	v_add_f32_e32 v39, v39, v58
	v_add_f32_e32 v55, v55, v59
	v_mov_b32_e32 v46, 0
	v_fma_f32 v60, v49, s27, -v56
	v_fma_f32 v61, v48, s27, -v57
	v_rndne_f32_e32 v58, v56
	v_rndne_f32_e32 v59, v57
	v_cvt_i32_f32_e32 v38, v38
	v_cvt_i32_f32_e32 v54, v54
	v_exp_f32_e32 v39, v39
	v_exp_f32_e32 v55, v55
	v_cmp_ngt_f32_e64 s[0:1], s7, v49
	v_cmp_nlt_f32_e64 s[2:3], s24, v49
	v_cmp_ngt_f32_e64 s[4:5], s7, v48
	v_cmp_nlt_f32_e64 s[8:9], s24, v48
	v_fmac_f32_e32 v60, 0x32a5705f, v49
	v_fmac_f32_e32 v61, 0x32a5705f, v48
	ds_read_b128 v[48:51], v46
	v_sub_f32_e32 v56, v56, v58
	v_sub_f32_e32 v57, v57, v59
	v_add_f32_e32 v56, v56, v60
	v_add_f32_e32 v57, v57, v61
	v_cvt_i32_f32_e32 v58, v58
	v_cvt_i32_f32_e32 v59, v59
	v_exp_f32_e32 v56, v56
	v_exp_f32_e32 v57, v57
	v_ldexp_f32 v38, v39, v38
	v_ldexp_f32 v39, v55, v54
	v_mov_b32_e32 v47, 0x7f800000
	v_cndmask_b32_e64 v38, 0, v38, s[10:11]
	v_cndmask_b32_e64 v54, 0, v39, s[12:13]
	;; [unrolled: 1-line block ×4, first 2 shown]
	v_pk_mul_f32 v[52:53], v[40:41], v[10:11] op_sel_hi:[0,1]
	s_add_u32 s10, s30, s18
	s_addc_u32 s11, s29, s19
	s_waitcnt vmcnt(0)
	v_mul_f32_e32 v42, v40, v42
	s_waitcnt lgkmcnt(0)
	v_pk_mul_f32 v[48:49], v[42:43], v[48:49] op_sel_hi:[0,1]
	v_pk_fma_f32 v[30:31], v[30:31], v[38:39], v[48:49]
	v_ldexp_f32 v38, v56, v58
	v_ldexp_f32 v39, v57, v59
	v_cndmask_b32_e64 v38, 0, v38, s[0:1]
	v_cndmask_b32_e64 v57, 0, v39, s[4:5]
	v_pk_mul_f32 v[54:55], v[42:43], v[50:51] op_sel_hi:[0,1]
	v_mul_f32_e32 v56, 0x3fb8aa3b, v53
	v_cndmask_b32_e64 v39, v47, v38, s[2:3]
	v_cndmask_b32_e64 v38, v47, v57, s[8:9]
	v_pk_fma_f32 v[38:39], v[32:33], v[38:39], v[54:55]
	v_fma_f32 v32, v53, s27, -v56
	v_rndne_f32_e32 v33, v56
	v_mul_f32_e32 v57, 0x3fb8aa3b, v52
	v_fmac_f32_e32 v32, 0x32a5705f, v53
	v_sub_f32_e32 v56, v56, v33
	v_fma_f32 v54, v52, s27, -v57
	v_rndne_f32_e32 v55, v57
	v_add_f32_e32 v32, v56, v32
	v_cvt_i32_f32_e32 v33, v33
	v_fmac_f32_e32 v54, 0x32a5705f, v52
	v_exp_f32_e32 v32, v32
	v_sub_f32_e32 v56, v57, v55
	v_add_f32_e32 v54, v56, v54
	v_exp_f32_e32 v54, v54
	v_cvt_i32_f32_e32 v55, v55
	ds_read_b128 v[48:51], v46 offset:16
	v_ldexp_f32 v32, v32, v33
	v_cmp_ngt_f32_e64 s[0:1], s7, v53
	v_cndmask_b32_e64 v32, 0, v32, s[0:1]
	v_cmp_nlt_f32_e64 s[0:1], s24, v53
	v_cndmask_b32_e64 v33, v47, v32, s[0:1]
	v_ldexp_f32 v32, v54, v55
	v_cmp_ngt_f32_e64 s[0:1], s7, v52
	v_cndmask_b32_e64 v32, 0, v32, s[0:1]
	v_cmp_nlt_f32_e64 s[0:1], s24, v52
	v_pk_mul_f32 v[54:55], v[40:41], v[12:13] op_sel_hi:[0,1]
	v_cndmask_b32_e64 v32, v47, v32, s[0:1]
	s_waitcnt lgkmcnt(0)
	v_pk_mul_f32 v[48:49], v[42:43], v[48:49] op_sel_hi:[0,1]
	v_mul_f32_e32 v53, 0x3fb8aa3b, v55
	v_pk_fma_f32 v[32:33], v[26:27], v[32:33], v[48:49]
	v_mul_f32_e32 v26, 0x3fb8aa3b, v54
	v_fma_f32 v56, v55, s27, -v53
	v_rndne_f32_e32 v57, v53
	v_fma_f32 v27, v54, s27, -v26
	v_rndne_f32_e32 v48, v26
	v_fmac_f32_e32 v56, 0x32a5705f, v55
	v_sub_f32_e32 v53, v53, v57
	v_fmac_f32_e32 v27, 0x32a5705f, v54
	v_sub_f32_e32 v26, v26, v48
	v_add_f32_e32 v56, v53, v56
	v_add_f32_e32 v26, v26, v27
	v_exp_f32_e32 v27, v56
	v_cvt_i32_f32_e32 v49, v57
	v_exp_f32_e32 v26, v26
	v_cvt_i32_f32_e32 v48, v48
	v_cmp_ngt_f32_e64 s[0:1], s7, v55
	v_cmp_nlt_f32_e64 s[2:3], s24, v55
	v_cmp_ngt_f32_e64 s[4:5], s7, v54
	v_cmp_nlt_f32_e64 s[8:9], s24, v54
	ds_read_b128 v[52:55], v46 offset:64
	v_ldexp_f32 v27, v27, v49
	v_ldexp_f32 v26, v26, v48
	v_cndmask_b32_e64 v27, 0, v27, s[0:1]
	v_cndmask_b32_e64 v26, 0, v26, s[4:5]
	v_cndmask_b32_e64 v27, v47, v27, s[2:3]
	v_cndmask_b32_e64 v26, v47, v26, s[8:9]
	v_pk_mul_f32 v[56:57], v[42:43], v[50:51] op_sel_hi:[0,1]
	ds_read_b128 v[48:51], v46 offset:32
	v_pk_fma_f32 v[26:27], v[28:29], v[26:27], v[56:57]
	s_waitcnt lgkmcnt(1)
	v_fma_f32 v60, v52, v30, 0
	v_pk_mul_f32 v[28:29], v[40:41], v[6:7] op_sel_hi:[0,1]
	v_fmac_f32_e32 v60, v53, v31
	v_mul_f32_e32 v52, 0x3fb8aa3b, v29
	v_fmac_f32_e32 v60, v54, v38
	v_fma_f32 v53, v29, s27, -v52
	v_rndne_f32_e32 v54, v52
	v_fmac_f32_e32 v53, 0x32a5705f, v29
	v_sub_f32_e32 v52, v52, v54
	v_add_f32_e32 v52, v52, v53
	v_exp_f32_e32 v52, v52
	v_cvt_i32_f32_e32 v53, v54
	v_fmac_f32_e32 v60, v55, v39
	v_cmp_ngt_f32_e64 s[0:1], s7, v29
	s_waitcnt lgkmcnt(0)
	v_pk_mul_f32 v[48:49], v[42:43], v[48:49] op_sel_hi:[0,1]
	v_ldexp_f32 v52, v52, v53
	v_mul_f32_e32 v53, 0x3fb8aa3b, v28
	v_fma_f32 v54, v28, s27, -v53
	v_rndne_f32_e32 v55, v53
	v_fmac_f32_e32 v54, 0x32a5705f, v28
	v_sub_f32_e32 v53, v53, v55
	v_add_f32_e32 v53, v53, v54
	v_exp_f32_e32 v53, v53
	v_cvt_i32_f32_e32 v54, v55
	v_cndmask_b32_e64 v52, 0, v52, s[0:1]
	v_cmp_nlt_f32_e64 s[0:1], s24, v29
	v_cndmask_b32_e64 v29, v47, v52, s[0:1]
	v_ldexp_f32 v52, v53, v54
	v_cmp_ngt_f32_e64 s[0:1], s7, v28
	v_cndmask_b32_e64 v52, 0, v52, s[0:1]
	v_cmp_nlt_f32_e64 s[0:1], s24, v28
	v_cndmask_b32_e64 v28, v47, v52, s[0:1]
	v_pk_fma_f32 v[22:23], v[22:23], v[28:29], v[48:49]
	v_pk_mul_f32 v[48:49], v[40:41], v[8:9] op_sel_hi:[0,1]
	v_mul_f32_e32 v28, 0x3fb8aa3b, v49
	v_fma_f32 v29, v49, s27, -v28
	v_rndne_f32_e32 v52, v28
	v_fmac_f32_e32 v29, 0x32a5705f, v49
	v_sub_f32_e32 v28, v28, v52
	v_add_f32_e32 v28, v28, v29
	v_cvt_i32_f32_e32 v29, v52
	v_mul_f32_e32 v52, 0x3fb8aa3b, v48
	v_exp_f32_e32 v28, v28
	v_fma_f32 v53, v48, s27, -v52
	v_rndne_f32_e32 v54, v52
	v_fmac_f32_e32 v53, 0x32a5705f, v48
	v_sub_f32_e32 v52, v52, v54
	v_add_f32_e32 v52, v52, v53
	v_exp_f32_e32 v52, v52
	v_cvt_i32_f32_e32 v54, v54
	ds_read_b128 v[56:59], v46 offset:80
	v_mov_b32_e32 v53, s21
	v_ldexp_f32 v55, v28, v29
	v_add_co_u32_e64 v28, s[0:1], s20, v41
	v_addc_co_u32_e64 v29, s[0:1], 0, v53, s[0:1]
	v_cmp_ngt_f32_e64 s[0:1], s7, v49
	v_cndmask_b32_e64 v55, 0, v55, s[0:1]
	v_ldexp_f32 v52, v52, v54
	v_cmp_ngt_f32_e64 s[0:1], s7, v48
	v_cndmask_b32_e64 v54, 0, v52, s[0:1]
	v_cmp_nlt_f32_e64 s[0:1], s24, v48
	v_cmp_nlt_f32_e64 s[2:3], s24, v49
	v_pk_mul_f32 v[52:53], v[42:43], v[50:51] op_sel_hi:[0,1]
	ds_read_b128 v[48:51], v46 offset:96
	s_waitcnt lgkmcnt(1)
	v_fmac_f32_e32 v60, v56, v32
	v_fmac_f32_e32 v60, v57, v33
	;; [unrolled: 1-line block ×3, first 2 shown]
	v_cndmask_b32_e64 v55, v47, v55, s[2:3]
	v_cndmask_b32_e64 v54, v47, v54, s[0:1]
	v_fmac_f32_e32 v60, v59, v27
	v_pk_fma_f32 v[24:25], v[24:25], v[54:55], v[52:53]
	v_pk_mul_f32 v[52:53], v[40:41], v[2:3] op_sel_hi:[0,1]
	s_waitcnt lgkmcnt(0)
	v_fmac_f32_e32 v60, v48, v22
	v_mul_f32_e32 v48, 0x3fb8aa3b, v53
	v_fma_f32 v54, v53, s27, -v48
	v_rndne_f32_e32 v55, v48
	v_fmac_f32_e32 v54, 0x32a5705f, v53
	v_sub_f32_e32 v48, v48, v55
	v_add_f32_e32 v48, v48, v54
	v_exp_f32_e32 v54, v48
	v_cvt_i32_f32_e32 v55, v55
	v_fmac_f32_e32 v60, v49, v23
	v_cmp_ngt_f32_e64 s[0:1], s7, v53
	v_fmac_f32_e32 v60, v50, v24
	v_ldexp_f32 v54, v54, v55
	v_mul_f32_e32 v55, 0x3fb8aa3b, v52
	v_fma_f32 v57, v52, s27, -v55
	v_rndne_f32_e32 v58, v55
	v_fmac_f32_e32 v57, 0x32a5705f, v52
	v_sub_f32_e32 v55, v55, v58
	v_add_f32_e32 v55, v55, v57
	v_exp_f32_e32 v55, v55
	v_cvt_i32_f32_e32 v57, v58
	v_cndmask_b32_e64 v54, 0, v54, s[0:1]
	v_cmp_nlt_f32_e64 s[0:1], s24, v53
	v_fmac_f32_e32 v60, v51, v25
	ds_read_b128 v[48:51], v46 offset:48
	v_cndmask_b32_e64 v53, v47, v54, s[0:1]
	v_ldexp_f32 v54, v55, v57
	v_cmp_ngt_f32_e64 s[0:1], s7, v52
	v_cndmask_b32_e64 v57, 0, v54, s[0:1]
	v_pk_mul_f32 v[54:55], v[40:41], v[4:5] op_sel_hi:[0,1]
	v_mul_f32_e32 v40, 0x3fb8aa3b, v55
	v_cmp_nlt_f32_e64 s[0:1], s24, v52
	v_fma_f32 v52, v55, s27, -v40
	v_rndne_f32_e32 v58, v40
	v_fmac_f32_e32 v52, 0x32a5705f, v55
	v_sub_f32_e32 v40, v40, v58
	v_add_f32_e32 v40, v40, v52
	v_cndmask_b32_e64 v52, v47, v57, s[0:1]
	s_waitcnt lgkmcnt(0)
	v_pk_mul_f32 v[48:49], v[42:43], v[48:49] op_sel_hi:[0,1]
	v_pk_fma_f32 v[18:19], v[18:19], v[52:53], v[48:49]
	v_mul_f32_e32 v48, 0x3fb8aa3b, v54
	v_fma_f32 v49, v54, s27, -v48
	v_rndne_f32_e32 v52, v48
	v_fmac_f32_e32 v49, 0x32a5705f, v54
	v_sub_f32_e32 v48, v48, v52
	v_exp_f32_e32 v40, v40
	v_cvt_i32_f32_e32 v58, v58
	v_add_f32_e32 v48, v48, v49
	v_exp_f32_e32 v48, v48
	v_cvt_i32_f32_e32 v49, v52
	v_cmp_ngt_f32_e64 s[0:1], s7, v55
	v_cmp_nlt_f32_e64 s[2:3], s24, v55
	v_cmp_ngt_f32_e64 s[4:5], s7, v54
	v_cmp_nlt_f32_e64 s[8:9], s24, v54
	ds_read_b128 v[52:55], v46 offset:112
	v_ldexp_f32 v40, v40, v58
	v_cndmask_b32_e64 v40, 0, v40, s[0:1]
	v_ldexp_f32 v46, v48, v49
	v_cndmask_b32_e64 v49, v47, v40, s[2:3]
	v_cndmask_b32_e64 v40, 0, v46, s[4:5]
	;; [unrolled: 1-line block ×3, first 2 shown]
	s_waitcnt lgkmcnt(0)
	v_fmac_f32_e32 v60, v52, v18
	v_pk_mul_f32 v[50:51], v[42:43], v[50:51] op_sel_hi:[0,1]
	v_fmac_f32_e32 v60, v53, v19
	v_pk_fma_f32 v[20:21], v[20:21], v[48:49], v[50:51]
	v_mov_b32_e32 v56, s11
	v_add_co_u32_e64 v40, s[0:1], s10, v41
	v_fmac_f32_e32 v60, v54, v20
	v_addc_co_u32_e64 v46, s[0:1], 0, v56, s[0:1]
	v_fmac_f32_e32 v60, v55, v21
	global_store_dword v41, v60, s[10:11]
	s_barrier
	s_and_saveexec_b64 s[0:1], vcc
	s_cbranch_execz .LBB3_6
; %bb.5:
	s_ashr_i32 s2, s31, 2
	s_ashr_i32 s3, s2, 31
	s_ashr_i32 s4, s41, 2
	s_lshl_b64 s[2:3], s[2:3], 2
	s_ashr_i32 s5, s4, 31
	v_mov_b32_e32 v42, s3
	v_add_co_u32_e32 v36, vcc, s2, v36
	v_addc_co_u32_e32 v37, vcc, v37, v42, vcc
	s_lshl_b64 s[2:3], s[4:5], 2
	global_load_dword v36, v[36:37], off
	v_mov_b32_e32 v37, s3
	v_add_co_u32_e32 v0, vcc, s2, v0
	v_addc_co_u32_e32 v1, vcc, v1, v37, vcc
	global_load_dword v0, v[0:1], off
	s_waitcnt vmcnt(1)
	ds_write_b32 v41, v36
	s_waitcnt vmcnt(0)
	ds_write_b32 v43, v0
.LBB3_6:
	s_or_b64 exec, exec, s[0:1]
	s_ashr_i32 s0, s28, 2
	s_ashr_i32 s1, s0, 31
	s_lshl_b64 s[0:1], s[0:1], 2
	v_mov_b32_e32 v1, s1
	v_add_co_u32_e32 v0, vcc, s0, v44
	v_addc_co_u32_e32 v1, vcc, v45, v1, vcc
	s_waitcnt lgkmcnt(0)
	s_barrier
	global_load_dword v0, v[0:1], off
	s_mov_b32 s0, 0x41a00000
	s_waitcnt vmcnt(0)
	v_cmp_ge_f32_e32 vcc, s0, v0
	s_and_saveexec_b64 s[2:3], vcc
	s_cbranch_execz .LBB3_8
; %bb.7:
	v_mul_f32_e32 v1, 0x3fb8aa3b, v0
	s_mov_b32 s0, 0x3fb8aa3b
	v_rndne_f32_e32 v36, v1
	v_sub_f32_e32 v37, v1, v36
	v_fma_f32 v1, v0, s0, -v1
	v_fmac_f32_e32 v1, 0x32a5705f, v0
	v_add_f32_e32 v1, v37, v1
	v_exp_f32_e32 v1, v1
	v_cvt_i32_f32_e32 v36, v36
	s_mov_b32 s0, 0xc2ce8ed0
	v_cmp_ngt_f32_e32 vcc, s0, v0
	s_mov_b32 s0, 0x42b17218
	v_ldexp_f32 v1, v1, v36
	v_cndmask_b32_e32 v1, 0, v1, vcc
	v_mov_b32_e32 v36, 0x7f800000
	v_cmp_nlt_f32_e32 vcc, s0, v0
	v_cndmask_b32_e32 v47, v36, v1, vcc
	v_add_f32_e32 v36, 1.0, v47
	v_add_f32_e32 v0, -1.0, v36
	v_sub_f32_e32 v1, v0, v36
	v_add_f32_e32 v1, 1.0, v1
	v_sub_f32_e32 v0, v47, v0
	v_add_f32_e32 v37, v0, v1
	v_frexp_mant_f32_e32 v41, v36
	s_mov_b32 s0, 0x3f2aaaab
	v_cvt_f64_f32_e32 v[0:1], v36
	v_frexp_exp_i32_f64_e32 v0, v[0:1]
	v_cmp_gt_f32_e32 vcc, s0, v41
	v_subbrev_co_u32_e32 v41, vcc, 0, v0, vcc
	v_sub_u32_e32 v0, 0, v41
	v_ldexp_f32 v1, v36, v0
	v_add_f32_e32 v36, -1.0, v1
	v_add_f32_e32 v42, 1.0, v1
	v_ldexp_f32 v0, v37, v0
	v_add_f32_e32 v37, 1.0, v36
	v_add_f32_e32 v43, -1.0, v42
	v_sub_f32_e32 v37, v1, v37
	v_sub_f32_e32 v1, v1, v43
	v_add_f32_e32 v37, v0, v37
	v_add_f32_e32 v0, v0, v1
	;; [unrolled: 1-line block ×3, first 2 shown]
	v_rcp_f32_e32 v50, v48
	v_sub_f32_e32 v1, v42, v48
	v_add_f32_e32 v49, v0, v1
	v_add_f32_e32 v1, v36, v37
	v_mul_f32_e32 v52, v1, v50
	v_sub_f32_e32 v0, v36, v1
	v_mul_f32_e32 v36, v48, v52
	v_fma_f32 v42, v52, v48, -v36
	v_fmac_f32_e32 v42, v52, v49
	v_add_f32_e32 v51, v37, v0
	v_add_f32_e32 v0, v36, v42
	v_sub_f32_e32 v37, v1, v0
	v_pk_add_f32 v[44:45], v[0:1], v[36:37] neg_lo:[0,1] neg_hi:[0,1]
	v_mov_b32_e32 v43, v0
	v_pk_add_f32 v[0:1], v[44:45], v[42:43] neg_lo:[0,1] neg_hi:[0,1]
	v_add_f32_e32 v1, v51, v1
	v_add_f32_e32 v0, v0, v1
	;; [unrolled: 1-line block ×3, first 2 shown]
	v_mul_f32_e32 v51, v50, v1
	v_mul_f32_e32 v36, v48, v51
	v_fma_f32 v42, v51, v48, -v36
	v_fmac_f32_e32 v42, v51, v49
	v_sub_f32_e32 v37, v37, v1
	v_add_f32_e32 v48, v0, v37
	v_add_f32_e32 v0, v36, v42
	v_sub_f32_e32 v37, v1, v0
	v_pk_add_f32 v[44:45], v[0:1], v[36:37] neg_lo:[0,1] neg_hi:[0,1]
	v_mov_b32_e32 v43, v0
	v_pk_add_f32 v[0:1], v[44:45], v[42:43] neg_lo:[0,1] neg_hi:[0,1]
	v_add_f32_e32 v1, v48, v1
	v_add_f32_e32 v0, v0, v1
	;; [unrolled: 1-line block ×4, first 2 shown]
	v_sub_f32_e32 v1, v37, v52
	v_mul_f32_e32 v0, v50, v0
	v_sub_f32_e32 v1, v51, v1
	v_add_f32_e32 v0, v1, v0
	v_add_f32_e32 v42, v37, v0
	v_mul_f32_e32 v44, v42, v42
	v_mov_b32_e32 v36, 0x3ecc95a3
	v_fmac_f32_e32 v36, 0x3e9b6dac, v44
	v_mov_b32_e32 v1, 0x3f2aaada
	v_fmac_f32_e32 v1, v44, v36
	v_cvt_f32_i32_e32 v36, v41
	v_sub_f32_e32 v37, v42, v37
	v_sub_f32_e32 v0, v0, v37
	v_ldexp_f32 v41, v0, 1
	v_mul_f32_e32 v37, v42, v44
	v_mov_b32_e32 v0, 0x3f317218
	s_mov_b32 s0, 0x3f317218
	v_pk_mul_f32 v[0:1], v[36:37], v[0:1]
	v_ldexp_f32 v43, v42, 1
	v_fma_f32 v42, v36, s0, -v0
	v_fmac_f32_e32 v42, 0xb102e308, v36
	v_pk_add_f32 v[36:37], v[0:1], v[42:43]
	v_sub_f32_e32 v43, v37, v43
	v_sub_f32_e32 v43, v1, v43
	v_add_f32_e32 v45, v41, v43
	v_mov_b32_e32 v44, v0
	v_pk_add_f32 v[0:1], v[36:37], v[0:1] neg_lo:[0,1] neg_hi:[0,1]
	v_pk_add_f32 v[48:49], v[36:37], v[44:45]
	v_mov_b32_e32 v1, v49
	v_mov_b32_e32 v43, v36
	v_pk_add_f32 v[50:51], v[42:43], v[0:1] neg_lo:[0,1] neg_hi:[0,1]
	v_pk_add_f32 v[0:1], v[42:43], v[0:1]
	v_mov_b32_e32 v42, v1
	v_pk_add_f32 v[52:53], v[42:43], v[36:37] neg_lo:[0,1] neg_hi:[0,1]
	v_mov_b32_e32 v41, v52
	v_pk_add_f32 v[54:55], v[48:49], v[40:41] neg_lo:[0,1] neg_hi:[0,1]
	v_mov_b32_e32 v0, v49
	v_mov_b32_e32 v48, v37
	;; [unrolled: 1-line block ×4, first 2 shown]
	v_pk_add_f32 v[0:1], v[0:1], v[48:49] neg_lo:[0,1] neg_hi:[0,1]
	v_mov_b32_e32 v44, v45
	v_mov_b32_e32 v45, v36
	v_pk_add_f32 v[0:1], v[44:45], v[0:1] neg_lo:[0,1] neg_hi:[0,1]
	v_mov_b32_e32 v54, v50
	v_pk_add_f32 v[36:37], v[54:55], v[0:1]
	v_mov_b32_e32 v44, v37
	v_pk_add_f32 v[44:45], v[36:37], v[44:45]
	v_pk_add_f32 v[42:43], v[42:43], v[44:45]
	v_mov_b32_e32 v37, v42
	v_pk_add_f32 v[48:49], v[36:37], v[50:51] neg_lo:[0,1] neg_hi:[0,1]
	v_mov_b32_e32 v1, v44
	v_sub_f32_e32 v36, v36, v48
	v_pk_add_f32 v[0:1], v[0:1], v[48:49] neg_lo:[0,1] neg_hi:[0,1]
	v_sub_f32_e32 v36, v50, v36
	s_mov_b32 s1, 0x7f800000
	v_add_f32_e32 v0, v0, v36
	s_mov_b32 s0, 0x33800000
	v_add_f32_e32 v0, v0, v1
	v_cmp_eq_f32_e32 vcc, s1, v47
	v_cmp_gt_f32_e64 s[0:1], s0, v47
	v_add_f32_e32 v0, v42, v0
	s_or_b64 vcc, s[0:1], vcc
	v_cndmask_b32_e32 v0, v0, v47, vcc
.LBB3_8:
	s_or_b64 exec, exec, s[2:3]
	s_ashr_i32 s0, s26, 2
	s_ashr_i32 s1, s0, 31
	s_add_u32 s2, s22, s36
	s_addc_u32 s3, s23, s37
	s_mul_i32 s4, s6, s25
	s_add_u32 s20, s2, s4
	s_addc_u32 s19, s3, 0
	s_lshl_b64 s[0:1], s[0:1], 2
	v_mov_b32_e32 v1, s1
	v_add_co_u32_e32 v28, vcc, s0, v28
	v_addc_co_u32_e32 v29, vcc, v29, v1, vcc
	global_load_dword v1, v[28:29], off
	s_mov_b32 s18, 0x3fb8aa3b
	s_mov_b32 s16, 0xc2ce8ed0
	;; [unrolled: 1-line block ×3, first 2 shown]
	v_mov_b32_e32 v47, 0
	v_mov_b32_e32 v54, 0x7f800000
	s_mov_b32 s14, 0
	s_mov_b32 s15, s38
	s_waitcnt vmcnt(0)
	v_pk_mul_f32 v[36:37], v[0:1], v[14:15] op_sel_hi:[0,1]
	v_pk_mul_f32 v[42:43], v[0:1], v[16:17] op_sel_hi:[0,1]
	;; [unrolled: 1-line block ×3, first 2 shown]
	v_mul_f32_e32 v2, 0x3fb8aa3b, v37
	v_pk_mul_f32 v[16:17], v[0:1], v[8:9] op_sel_hi:[0,1]
	v_mul_f32_e32 v9, 0x3fb8aa3b, v42
	v_fma_f32 v44, v37, s18, -v2
	v_mul_f32_e32 v3, 0x3fb8aa3b, v36
	v_cmp_ngt_f32_e32 vcc, s16, v37
	v_cmp_nlt_f32_e64 s[4:5], s17, v37
	v_fmac_f32_e32 v44, 0x32a5705f, v37
	v_fma_f32 v37, v42, s18, -v9
	v_cmp_ngt_f32_e64 s[10:11], s16, v42
	v_cmp_nlt_f32_e64 s[12:13], s17, v42
	v_fma_f32 v48, v36, s18, -v3
	v_fmac_f32_e32 v37, 0x32a5705f, v42
	v_rndne_f32_e32 v42, v3
	v_fmac_f32_e32 v48, 0x32a5705f, v36
	v_sub_f32_e32 v3, v3, v42
	v_mul_f32_e32 v8, 0x3fb8aa3b, v43
	v_add_f32_e32 v3, v3, v48
	v_pk_mul_f32 v[52:53], v[0:1], v[10:11] op_sel_hi:[0,1]
	v_cmp_ngt_f32_e64 s[0:1], s16, v36
	v_cmp_nlt_f32_e64 s[2:3], s17, v36
	v_rndne_f32_e32 v45, v2
	v_fma_f32 v36, v43, s18, -v8
	v_cvt_i32_f32_e32 v42, v42
	v_exp_f32_e32 v3, v3
	v_cmp_ngt_f32_e64 s[6:7], s16, v43
	v_cmp_nlt_f32_e64 s[8:9], s17, v43
	v_mul_f32_e32 v41, 0x3fb8aa3b, v53
	v_fmac_f32_e32 v36, 0x32a5705f, v43
	v_rndne_f32_e32 v43, v8
	v_sub_f32_e32 v2, v2, v45
	v_add_f32_e32 v2, v2, v44
	v_rndne_f32_e32 v49, v9
	v_fma_f32 v44, v53, s18, -v41
	v_sub_f32_e32 v8, v8, v43
	v_rndne_f32_e32 v48, v41
	v_add_f32_e32 v8, v8, v36
	v_cvt_i32_f32_e32 v36, v45
	v_sub_f32_e32 v9, v9, v49
	v_fmac_f32_e32 v44, 0x32a5705f, v53
	v_sub_f32_e32 v41, v41, v48
	v_exp_f32_e32 v2, v2
	v_pk_mul_f32 v[10:11], v[0:1], v[12:13] op_sel_hi:[0,1]
	v_pk_mul_f32 v[28:29], v[0:1], v[6:7] op_sel_hi:[0,1]
	;; [unrolled: 1-line block ×3, first 2 shown]
	ds_read_b128 v[4:7], v47 offset:64
	v_cvt_i32_f32_e32 v50, v43
	v_add_f32_e32 v9, v9, v37
	v_add_f32_e32 v37, v41, v44
	v_exp_f32_e32 v8, v8
	v_ldexp_f32 v3, v3, v42
	ds_read_b128 v[42:45], v47
	v_cvt_i32_f32_e32 v41, v49
	v_exp_f32_e32 v49, v9
	v_ldexp_f32 v2, v2, v36
	v_ldexp_f32 v50, v8, v50
	v_cndmask_b32_e32 v2, 0, v2, vcc
	v_cndmask_b32_e64 v8, 0, v3, s[0:1]
	v_mul_f32_e32 v36, v0, v1
	v_cndmask_b32_e64 v3, v54, v2, s[4:5]
	v_cndmask_b32_e64 v2, v54, v8, s[2:3]
	s_waitcnt lgkmcnt(0)
	v_pk_mul_f32 v[0:1], v[36:37], v[42:43] op_sel_hi:[0,1]
	v_pk_fma_f32 v[0:1], v[30:31], v[2:3], v[0:1]
	v_ldexp_f32 v2, v49, v41
	v_exp_f32_e32 v30, v37
	v_cvt_i32_f32_e32 v31, v48
	v_cndmask_b32_e64 v3, 0, v50, s[6:7]
	v_cndmask_b32_e64 v2, 0, v2, s[10:11]
	v_pk_mul_f32 v[8:9], v[36:37], v[44:45] op_sel_hi:[0,1]
	v_cndmask_b32_e64 v3, v54, v3, s[8:9]
	v_cndmask_b32_e64 v2, v54, v2, s[12:13]
	v_pk_fma_f32 v[2:3], v[38:39], v[2:3], v[8:9]
	v_mul_f32_e32 v9, 0x3fb8aa3b, v52
	v_ldexp_f32 v8, v30, v31
	v_fma_f32 v30, v52, s18, -v9
	v_rndne_f32_e32 v31, v9
	v_fmac_f32_e32 v30, 0x32a5705f, v52
	v_sub_f32_e32 v9, v9, v31
	v_add_f32_e32 v9, v9, v30
	v_exp_f32_e32 v30, v9
	v_cvt_i32_f32_e32 v31, v31
	v_cmp_ngt_f32_e32 vcc, s16, v53
	v_cndmask_b32_e32 v8, 0, v8, vcc
	v_cmp_nlt_f32_e32 vcc, s17, v53
	v_cndmask_b32_e32 v9, v54, v8, vcc
	v_ldexp_f32 v8, v30, v31
	v_mul_f32_e32 v30, 0x3fb8aa3b, v11
	ds_read_b128 v[42:45], v47 offset:80
	ds_read_b128 v[48:51], v47 offset:16
	v_rndne_f32_e32 v37, v30
	v_fma_f32 v31, v11, s18, -v30
	v_sub_f32_e32 v30, v30, v37
	v_cvt_i32_f32_e32 v37, v37
	v_cmp_ngt_f32_e32 vcc, s16, v52
	v_fmac_f32_e32 v31, 0x32a5705f, v11
	v_cndmask_b32_e32 v8, 0, v8, vcc
	v_cmp_nlt_f32_e32 vcc, s17, v52
	v_add_f32_e32 v30, v30, v31
	v_exp_f32_e32 v38, v30
	v_cndmask_b32_e32 v8, v54, v8, vcc
	s_waitcnt lgkmcnt(0)
	v_pk_mul_f32 v[30:31], v[36:37], v[48:49] op_sel_hi:[0,1]
	v_pk_fma_f32 v[8:9], v[32:33], v[8:9], v[30:31]
	v_mul_f32_e32 v30, 0x3fb8aa3b, v10
	v_fma_f32 v31, v10, s18, -v30
	v_rndne_f32_e32 v32, v30
	v_fmac_f32_e32 v31, 0x32a5705f, v10
	v_sub_f32_e32 v30, v30, v32
	v_add_f32_e32 v30, v30, v31
	v_ldexp_f32 v37, v38, v37
	v_exp_f32_e32 v38, v30
	v_cvt_i32_f32_e32 v39, v32
	v_cmp_ngt_f32_e32 vcc, s16, v11
	v_cmp_nlt_f32_e64 s[0:1], s17, v11
	v_cmp_ngt_f32_e64 s[2:3], s16, v10
	v_cmp_nlt_f32_e64 s[4:5], s17, v10
	v_cndmask_b32_e32 v10, 0, v37, vcc
	v_ldexp_f32 v37, v38, v39
	v_cndmask_b32_e64 v11, v54, v10, s[0:1]
	v_cndmask_b32_e64 v10, 0, v37, s[2:3]
	;; [unrolled: 1-line block ×3, first 2 shown]
	v_pk_mul_f32 v[38:39], v[36:37], v[50:51] op_sel_hi:[0,1]
	s_ashr_i64 s[0:1], s[14:15], 30
	v_pk_fma_f32 v[10:11], v[26:27], v[10:11], v[38:39]
	v_mov_b32_e32 v27, s1
	s_add_u32 s1, s20, s34
	v_add_co_u32_e32 v26, vcc, s0, v40
	v_addc_co_u32_e32 v27, vcc, v46, v27, vcc
	s_addc_u32 s0, s19, s33
	v_mov_b32_e32 v37, s0
	v_add_co_u32_e32 v34, vcc, s1, v34
	v_addc_co_u32_e32 v35, vcc, v37, v35, vcc
	v_fma_f32 v37, v4, v0, 0
	v_fmac_f32_e32 v37, v5, v1
	v_mul_f32_e32 v4, 0x3fb8aa3b, v29
	v_fmac_f32_e32 v37, v6, v2
	v_fma_f32 v5, v29, s18, -v4
	v_rndne_f32_e32 v6, v4
	v_fmac_f32_e32 v37, v7, v3
	v_fmac_f32_e32 v5, 0x32a5705f, v29
	v_sub_f32_e32 v4, v4, v6
	v_fmac_f32_e32 v37, v42, v8
	v_add_f32_e32 v4, v4, v5
	v_fmac_f32_e32 v37, v43, v9
	v_exp_f32_e32 v42, v4
	v_cvt_i32_f32_e32 v43, v6
	v_fmac_f32_e32 v37, v44, v10
	v_fmac_f32_e32 v37, v45, v11
	ds_read_b128 v[38:41], v47 offset:32
	ds_read_b128 v[4:7], v47 offset:48
	v_ldexp_f32 v42, v42, v43
	v_mul_f32_e32 v43, 0x3fb8aa3b, v28
	v_fma_f32 v44, v28, s18, -v43
	v_rndne_f32_e32 v45, v43
	v_fmac_f32_e32 v44, 0x32a5705f, v28
	v_sub_f32_e32 v43, v43, v45
	v_add_f32_e32 v43, v43, v44
	v_exp_f32_e32 v43, v43
	v_cvt_i32_f32_e32 v44, v45
	v_cmp_ngt_f32_e32 vcc, s16, v29
	ds_read_b128 v[30:33], v47 offset:96
	ds_read_b128 v[48:51], v47 offset:112
	v_cndmask_b32_e32 v42, 0, v42, vcc
	v_cmp_nlt_f32_e32 vcc, s17, v29
	v_cndmask_b32_e32 v29, v54, v42, vcc
	v_ldexp_f32 v42, v43, v44
	v_cmp_ngt_f32_e32 vcc, s16, v28
	v_cndmask_b32_e32 v42, 0, v42, vcc
	v_cmp_nlt_f32_e32 vcc, s17, v28
	v_cndmask_b32_e32 v28, v54, v42, vcc
	s_waitcnt lgkmcnt(3)
	v_pk_mul_f32 v[38:39], v[36:37], v[38:39] op_sel_hi:[0,1]
	v_mul_f32_e32 v42, 0x3fb8aa3b, v17
	v_fma_f32 v43, v17, s18, -v42
	v_rndne_f32_e32 v44, v42
	v_pk_fma_f32 v[22:23], v[22:23], v[28:29], v[38:39]
	v_fmac_f32_e32 v43, 0x32a5705f, v17
	v_sub_f32_e32 v42, v42, v44
	s_waitcnt lgkmcnt(1)
	v_fmac_f32_e32 v37, v30, v22
	v_mul_f32_e32 v29, 0x3fb8aa3b, v16
	v_add_f32_e32 v42, v42, v43
	v_fmac_f32_e32 v37, v31, v23
	v_fma_f32 v30, v16, s18, -v29
	v_rndne_f32_e32 v31, v29
	v_exp_f32_e32 v42, v42
	v_cvt_i32_f32_e32 v43, v44
	v_fmac_f32_e32 v30, 0x32a5705f, v16
	v_sub_f32_e32 v29, v29, v31
	v_add_f32_e32 v29, v29, v30
	v_exp_f32_e32 v29, v29
	v_cvt_i32_f32_e32 v30, v31
	v_ldexp_f32 v28, v42, v43
	v_cmp_ngt_f32_e32 vcc, s16, v17
	v_cndmask_b32_e32 v28, 0, v28, vcc
	v_cmp_nlt_f32_e32 vcc, s17, v17
	v_cndmask_b32_e32 v17, v54, v28, vcc
	v_ldexp_f32 v28, v29, v30
	v_cmp_ngt_f32_e32 vcc, s16, v16
	v_cndmask_b32_e32 v28, 0, v28, vcc
	v_cmp_nlt_f32_e32 vcc, s17, v16
	v_mul_f32_e32 v30, 0x3fb8aa3b, v15
	v_cndmask_b32_e32 v16, v54, v28, vcc
	v_pk_mul_f32 v[28:29], v[36:37], v[40:41] op_sel_hi:[0,1]
	v_fma_f32 v31, v15, s18, -v30
	v_rndne_f32_e32 v38, v30
	v_fmac_f32_e32 v31, 0x32a5705f, v15
	v_sub_f32_e32 v30, v30, v38
	v_pk_fma_f32 v[24:25], v[24:25], v[16:17], v[28:29]
	v_mul_f32_e32 v17, 0x3fb8aa3b, v14
	v_add_f32_e32 v30, v30, v31
	v_fma_f32 v28, v14, s18, -v17
	v_rndne_f32_e32 v29, v17
	v_exp_f32_e32 v30, v30
	v_cvt_i32_f32_e32 v31, v38
	v_fmac_f32_e32 v28, 0x32a5705f, v14
	v_sub_f32_e32 v17, v17, v29
	v_add_f32_e32 v17, v17, v28
	v_exp_f32_e32 v17, v17
	v_cvt_i32_f32_e32 v28, v29
	v_ldexp_f32 v16, v30, v31
	v_cmp_ngt_f32_e32 vcc, s16, v15
	v_cndmask_b32_e32 v16, 0, v16, vcc
	v_cmp_nlt_f32_e32 vcc, s17, v15
	v_cndmask_b32_e32 v15, v54, v16, vcc
	v_ldexp_f32 v16, v17, v28
	v_cmp_ngt_f32_e32 vcc, s16, v14
	v_cndmask_b32_e32 v16, 0, v16, vcc
	v_cmp_nlt_f32_e32 vcc, s17, v14
	v_cndmask_b32_e32 v14, v54, v16, vcc
	v_mul_f32_e32 v16, 0x3fb8aa3b, v13
	v_fma_f32 v17, v13, s18, -v16
	v_rndne_f32_e32 v28, v16
	v_fmac_f32_e32 v17, 0x32a5705f, v13
	v_sub_f32_e32 v16, v16, v28
	v_add_f32_e32 v16, v16, v17
	v_fmac_f32_e32 v37, v32, v24
	v_exp_f32_e32 v16, v16
	v_cvt_i32_f32_e32 v17, v28
	v_fmac_f32_e32 v37, v33, v25
	v_pk_mul_f32 v[4:5], v[36:37], v[4:5] op_sel_hi:[0,1]
	v_pk_fma_f32 v[4:5], v[18:19], v[14:15], v[4:5]
	v_mul_f32_e32 v15, 0x3fb8aa3b, v12
	v_ldexp_f32 v14, v16, v17
	v_fma_f32 v16, v12, s18, -v15
	v_rndne_f32_e32 v17, v15
	v_fmac_f32_e32 v16, 0x32a5705f, v12
	v_sub_f32_e32 v15, v15, v17
	v_add_f32_e32 v15, v15, v16
	v_exp_f32_e32 v15, v15
	v_cvt_i32_f32_e32 v16, v17
	v_cmp_ngt_f32_e32 vcc, s16, v13
	v_cndmask_b32_e32 v14, 0, v14, vcc
	v_cmp_nlt_f32_e32 vcc, s17, v13
	s_waitcnt lgkmcnt(0)
	v_fmac_f32_e32 v37, v48, v4
	v_cndmask_b32_e32 v13, v54, v14, vcc
	v_ldexp_f32 v14, v15, v16
	v_cmp_ngt_f32_e32 vcc, s16, v12
	v_fmac_f32_e32 v37, v49, v5
	v_cndmask_b32_e32 v14, 0, v14, vcc
	v_cmp_nlt_f32_e32 vcc, s17, v12
	v_cndmask_b32_e32 v12, v54, v14, vcc
	v_pk_mul_f32 v[6:7], v[36:37], v[6:7] op_sel_hi:[0,1]
	v_pk_fma_f32 v[6:7], v[20:21], v[12:13], v[6:7]
	v_fmac_f32_e32 v37, v50, v6
	v_fmac_f32_e32 v37, v51, v7
	global_store_dword v[26:27], v37, off
	s_barrier
	global_store_dwordx4 v[34:35], v[0:3], off
	global_store_dwordx4 v[34:35], v[8:11], off offset:16
	global_store_dwordx4 v[34:35], v[22:25], off offset:32
	;; [unrolled: 1-line block ×3, first 2 shown]
	s_endpgm
	.section	.rodata,"a",@progbits
	.p2align	6, 0x0
	.amdhsa_kernel _Z12ssm_scan_f32ILm128ELm16ELm2EEvPKfS1_S1_S1_S1_S1_PKiPfiiiiiiiiiiilll
		.amdhsa_group_segment_fixed_size 128
		.amdhsa_private_segment_fixed_size 0
		.amdhsa_kernarg_size 136
		.amdhsa_user_sgpr_count 6
		.amdhsa_user_sgpr_private_segment_buffer 1
		.amdhsa_user_sgpr_dispatch_ptr 0
		.amdhsa_user_sgpr_queue_ptr 0
		.amdhsa_user_sgpr_kernarg_segment_ptr 1
		.amdhsa_user_sgpr_dispatch_id 0
		.amdhsa_user_sgpr_flat_scratch_init 0
		.amdhsa_user_sgpr_kernarg_preload_length 0
		.amdhsa_user_sgpr_kernarg_preload_offset 0
		.amdhsa_user_sgpr_private_segment_size 0
		.amdhsa_uses_dynamic_stack 0
		.amdhsa_system_sgpr_private_segment_wavefront_offset 0
		.amdhsa_system_sgpr_workgroup_id_x 1
		.amdhsa_system_sgpr_workgroup_id_y 1
		.amdhsa_system_sgpr_workgroup_id_z 0
		.amdhsa_system_sgpr_workgroup_info 0
		.amdhsa_system_vgpr_workitem_id 0
		.amdhsa_next_free_vgpr 62
		.amdhsa_next_free_sgpr 44
		.amdhsa_accum_offset 64
		.amdhsa_reserve_vcc 1
		.amdhsa_reserve_flat_scratch 0
		.amdhsa_float_round_mode_32 0
		.amdhsa_float_round_mode_16_64 0
		.amdhsa_float_denorm_mode_32 3
		.amdhsa_float_denorm_mode_16_64 3
		.amdhsa_dx10_clamp 1
		.amdhsa_ieee_mode 1
		.amdhsa_fp16_overflow 0
		.amdhsa_tg_split 0
		.amdhsa_exception_fp_ieee_invalid_op 0
		.amdhsa_exception_fp_denorm_src 0
		.amdhsa_exception_fp_ieee_div_zero 0
		.amdhsa_exception_fp_ieee_overflow 0
		.amdhsa_exception_fp_ieee_underflow 0
		.amdhsa_exception_fp_ieee_inexact 0
		.amdhsa_exception_int_div_zero 0
	.end_amdhsa_kernel
	.section	.text._Z12ssm_scan_f32ILm128ELm16ELm2EEvPKfS1_S1_S1_S1_S1_PKiPfiiiiiiiiiiilll,"axG",@progbits,_Z12ssm_scan_f32ILm128ELm16ELm2EEvPKfS1_S1_S1_S1_S1_PKiPfiiiiiiiiiiilll,comdat
.Lfunc_end3:
	.size	_Z12ssm_scan_f32ILm128ELm16ELm2EEvPKfS1_S1_S1_S1_S1_PKiPfiiiiiiiiiiilll, .Lfunc_end3-_Z12ssm_scan_f32ILm128ELm16ELm2EEvPKfS1_S1_S1_S1_S1_PKiPfiiiiiiiiiiilll
                                        ; -- End function
	.section	.AMDGPU.csdata,"",@progbits
; Kernel info:
; codeLenInByte = 5740
; NumSgprs: 48
; NumVgprs: 62
; NumAgprs: 0
; TotalNumVgprs: 62
; ScratchSize: 0
; MemoryBound: 0
; FloatMode: 240
; IeeeMode: 1
; LDSByteSize: 128 bytes/workgroup (compile time only)
; SGPRBlocks: 5
; VGPRBlocks: 7
; NumSGPRsForWavesPerEU: 48
; NumVGPRsForWavesPerEU: 62
; AccumOffset: 64
; Occupancy: 8
; WaveLimiterHint : 1
; COMPUTE_PGM_RSRC2:SCRATCH_EN: 0
; COMPUTE_PGM_RSRC2:USER_SGPR: 6
; COMPUTE_PGM_RSRC2:TRAP_HANDLER: 0
; COMPUTE_PGM_RSRC2:TGID_X_EN: 1
; COMPUTE_PGM_RSRC2:TGID_Y_EN: 1
; COMPUTE_PGM_RSRC2:TGID_Z_EN: 0
; COMPUTE_PGM_RSRC2:TIDIG_COMP_CNT: 0
; COMPUTE_PGM_RSRC3_GFX90A:ACCUM_OFFSET: 15
; COMPUTE_PGM_RSRC3_GFX90A:TG_SPLIT: 0
	.section	.text._Z12ssm_scan_f32ILm128ELm16ELm3EEvPKfS1_S1_S1_S1_S1_PKiPfiiiiiiiiiiilll,"axG",@progbits,_Z12ssm_scan_f32ILm128ELm16ELm3EEvPKfS1_S1_S1_S1_S1_PKiPfiiiiiiiiiiilll,comdat
	.protected	_Z12ssm_scan_f32ILm128ELm16ELm3EEvPKfS1_S1_S1_S1_S1_PKiPfiiiiiiiiiiilll ; -- Begin function _Z12ssm_scan_f32ILm128ELm16ELm3EEvPKfS1_S1_S1_S1_S1_PKiPfiiiiiiiiiiilll
	.globl	_Z12ssm_scan_f32ILm128ELm16ELm3EEvPKfS1_S1_S1_S1_S1_PKiPfiiiiiiiiiiilll
	.p2align	8
	.type	_Z12ssm_scan_f32ILm128ELm16ELm3EEvPKfS1_S1_S1_S1_S1_PKiPfiiiiiiiiiiilll,@function
_Z12ssm_scan_f32ILm128ELm16ELm3EEvPKfS1_S1_S1_S1_S1_PKiPfiiiiiiiiiiilll: ; @_Z12ssm_scan_f32ILm128ELm16ELm3EEvPKfS1_S1_S1_S1_S1_PKiPfiiiiiiiiiiilll
; %bb.0:
	s_load_dwordx16 s[8:23], s[4:5], 0x0
	s_load_dwordx8 s[24:31], s[4:5], 0x40
	s_mov_b32 s2, s7
	s_mov_b32 s7, 0
	s_lshl_b64 s[0:1], s[6:7], 2
	s_waitcnt lgkmcnt(0)
	s_add_u32 s0, s20, s0
	s_addc_u32 s1, s21, s1
	s_load_dword s0, s[0:1], 0x0
	v_mov_b32_e32 v3, 0
	s_load_dwordx4 s[36:39], s[4:5], 0x60
	v_lshlrev_b32_e32 v49, 2, v0
	v_add_u32_e32 v52, 64, v49
	s_waitcnt lgkmcnt(0)
	s_mul_i32 s0, s0, s25
	s_ashr_i32 s1, s0, 31
	s_add_u32 s0, s8, s0
	s_addc_u32 s1, s9, s1
	s_lshl_b32 s3, s2, 7
	s_ashr_i32 s8, s24, 31
	s_mul_i32 s8, s3, s8
	s_mul_hi_u32 s9, s3, s24
	s_add_i32 s8, s9, s8
	s_lshr_b32 s9, s2, 25
	s_mul_i32 s20, s9, s24
	s_add_i32 s33, s8, s20
	s_mul_i32 s34, s3, s24
	s_add_u32 s0, s0, s34
	s_addc_u32 s1, s1, s33
	s_ashr_i32 s8, s30, 31
	s_mul_i32 s8, s3, s8
	s_mul_hi_u32 s20, s3, s30
	s_add_i32 s8, s20, s8
	s_mul_i32 s9, s9, s30
	s_add_i32 s8, s8, s9
	s_mul_i32 s3, s3, s30
	s_add_u32 s3, s14, s3
	s_addc_u32 s8, s15, s8
	s_ashr_i32 s14, s30, 2
	v_mul_lo_u32 v2, s14, v0
	s_ashr_i32 s9, s24, 2
	v_lshlrev_b64 v[4:5], 2, v[2:3]
	v_mov_b32_e32 v1, s8
	v_add_co_u32_e32 v36, vcc, s3, v4
	v_mul_lo_u32 v2, s9, v0
	v_addc_co_u32_e32 v37, vcc, v1, v5, vcc
	v_lshlrev_b64 v[34:35], 2, v[2:3]
	v_mov_b32_e32 v1, s1
	v_add_co_u32_e32 v38, vcc, s0, v34
	v_addc_co_u32_e32 v39, vcc, v1, v35, vcc
	global_load_dwordx4 v[2:5], v[36:37], off offset:48
	global_load_dwordx4 v[6:9], v[36:37], off offset:32
	;; [unrolled: 1-line block ×3, first 2 shown]
	global_load_dwordx4 v[14:17], v[36:37], off
	global_load_dwordx4 v[18:21], v[38:39], off offset:48
	global_load_dwordx4 v[22:25], v[38:39], off offset:32
	;; [unrolled: 1-line block ×3, first 2 shown]
	global_load_dwordx4 v[30:33], v[38:39], off
	s_mul_i32 s0, s6, s36
	s_add_u32 s0, s16, s0
	s_mov_b32 s3, s7
	s_mul_i32 s1, s6, s38
	s_addc_u32 s7, s17, 0
	s_add_u32 s8, s18, s1
	v_cmp_gt_u32_e32 vcc, 16, v0
	v_mov_b32_e32 v0, s7
	v_add_co_u32_e64 v36, s[0:1], s0, v49
	s_addc_u32 s9, s19, 0
	v_addc_co_u32_e64 v37, s[0:1], 0, v0, s[0:1]
	v_mov_b32_e32 v1, s9
	v_add_co_u32_e64 v0, s[0:1], s8, v49
	v_addc_co_u32_e64 v1, s[0:1], 0, v1, s[0:1]
	s_and_saveexec_b64 s[0:1], vcc
	s_cbranch_execz .LBB4_2
; %bb.1:
	global_load_dword v38, v[36:37], off
	global_load_dword v39, v[0:1], off
	s_waitcnt vmcnt(1)
	ds_write_b32 v49, v38
	s_waitcnt vmcnt(0)
	ds_write_b32 v52, v39
.LBB4_2:
	s_or_b64 exec, exec, s[0:1]
	s_lshl_b64 s[16:17], s[2:3], 9
	s_mul_i32 s0, s6, s29
	s_add_u32 s0, s12, s0
	s_addc_u32 s1, s13, 0
	s_add_u32 s0, s0, s16
	s_addc_u32 s1, s1, s17
	s_waitcnt lgkmcnt(0)
	s_barrier
	global_load_dword v38, v49, s[0:1]
	v_mov_b32_e32 v40, s1
	v_add_co_u32_e64 v39, s[0:1], s0, v49
	v_addc_co_u32_e64 v50, s[0:1], 0, v40, s[0:1]
	s_mov_b32 s0, 0x41a00000
	s_waitcnt vmcnt(0)
	v_cmp_ge_f32_e64 s[0:1], s0, v38
	s_and_saveexec_b64 s[8:9], s[0:1]
	s_cbranch_execz .LBB4_4
; %bb.3:
	v_mul_f32_e32 v40, 0x3fb8aa3b, v38
	s_mov_b32 s0, 0x3fb8aa3b
	v_rndne_f32_e32 v41, v40
	v_sub_f32_e32 v42, v40, v41
	v_fma_f32 v40, v38, s0, -v40
	v_fmac_f32_e32 v40, 0x32a5705f, v38
	v_add_f32_e32 v40, v42, v40
	v_exp_f32_e32 v40, v40
	v_cvt_i32_f32_e32 v41, v41
	s_mov_b32 s0, 0xc2ce8ed0
	v_cmp_ngt_f32_e64 s[0:1], s0, v38
	s_mov_b32 s2, 0x7f800000
	v_ldexp_f32 v40, v40, v41
	v_cndmask_b32_e64 v40, 0, v40, s[0:1]
	s_mov_b32 s0, 0x42b17218
	v_mov_b32_e32 v41, 0x7f800000
	v_cmp_nlt_f32_e64 s[0:1], s0, v38
	v_cndmask_b32_e64 v48, v41, v40, s[0:1]
	v_add_f32_e32 v38, 1.0, v48
	v_add_f32_e32 v40, -1.0, v38
	v_sub_f32_e32 v41, v40, v38
	v_add_f32_e32 v41, 1.0, v41
	v_sub_f32_e32 v40, v48, v40
	v_add_f32_e32 v42, v40, v41
	v_frexp_mant_f32_e32 v43, v38
	s_mov_b32 s0, 0x3f2aaaab
	v_cvt_f64_f32_e32 v[40:41], v38
	v_frexp_exp_i32_f64_e32 v40, v[40:41]
	v_cmp_gt_f32_e64 s[0:1], s0, v43
	v_subbrev_co_u32_e64 v51, s[0:1], 0, v40, s[0:1]
	v_sub_u32_e32 v40, 0, v51
	v_ldexp_f32 v38, v38, v40
	v_ldexp_f32 v40, v42, v40
	v_add_f32_e32 v42, -1.0, v38
	v_add_f32_e32 v41, 1.0, v42
	v_sub_f32_e32 v41, v38, v41
	v_add_f32_e32 v43, v40, v41
	v_add_f32_e32 v41, 1.0, v38
	v_add_f32_e32 v44, -1.0, v41
	v_sub_f32_e32 v38, v38, v44
	v_add_f32_e32 v38, v40, v38
	v_add_f32_e32 v53, v41, v38
	v_rcp_f32_e32 v54, v53
	v_sub_f32_e32 v40, v41, v53
	v_add_f32_e32 v41, v42, v43
	v_add_f32_e32 v38, v38, v40
	v_mul_f32_e32 v56, v41, v54
	v_sub_f32_e32 v40, v42, v41
	v_mul_f32_e32 v42, v53, v56
	v_fma_f32 v44, v56, v53, -v42
	v_fmac_f32_e32 v44, v56, v38
	v_add_f32_e32 v55, v43, v40
	v_add_f32_e32 v40, v42, v44
	v_sub_f32_e32 v43, v41, v40
	v_pk_add_f32 v[46:47], v[40:41], v[42:43] neg_lo:[0,1] neg_hi:[0,1]
	v_mov_b32_e32 v45, v40
	v_pk_add_f32 v[40:41], v[46:47], v[44:45] neg_lo:[0,1] neg_hi:[0,1]
	v_add_f32_e32 v41, v55, v41
	v_add_f32_e32 v40, v40, v41
	;; [unrolled: 1-line block ×3, first 2 shown]
	v_mul_f32_e32 v55, v54, v41
	v_mul_f32_e32 v42, v53, v55
	v_fma_f32 v44, v55, v53, -v42
	v_fmac_f32_e32 v44, v55, v38
	v_sub_f32_e32 v38, v43, v41
	v_add_f32_e32 v38, v40, v38
	v_add_f32_e32 v40, v42, v44
	v_sub_f32_e32 v43, v41, v40
	v_pk_add_f32 v[46:47], v[40:41], v[42:43] neg_lo:[0,1] neg_hi:[0,1]
	v_mov_b32_e32 v45, v40
	v_pk_add_f32 v[40:41], v[46:47], v[44:45] neg_lo:[0,1] neg_hi:[0,1]
	v_add_f32_e32 v38, v38, v41
	v_add_f32_e32 v38, v40, v38
	v_add_f32_e32 v40, v56, v55
	v_add_f32_e32 v38, v43, v38
	v_sub_f32_e32 v41, v40, v56
	v_mul_f32_e32 v38, v54, v38
	v_sub_f32_e32 v41, v55, v41
	v_add_f32_e32 v38, v41, v38
	v_add_f32_e32 v43, v40, v38
	v_mul_f32_e32 v44, v43, v43
	v_mov_b32_e32 v42, 0x3ecc95a3
	v_fmac_f32_e32 v42, 0x3e9b6dac, v44
	v_mov_b32_e32 v41, 0x3f2aaada
	v_fmac_f32_e32 v41, v44, v42
	v_cvt_f32_i32_e32 v42, v51
	v_sub_f32_e32 v40, v43, v40
	v_sub_f32_e32 v38, v38, v40
	v_ldexp_f32 v45, v43, 1
	v_mul_f32_e32 v43, v43, v44
	v_mov_b32_e32 v40, 0x3f317218
	s_mov_b32 s0, 0x3f317218
	v_pk_mul_f32 v[40:41], v[42:43], v[40:41]
	v_fma_f32 v44, v42, s0, -v40
	v_fmac_f32_e32 v44, 0xb102e308, v42
	v_pk_add_f32 v[42:43], v[40:41], v[44:45]
	v_sub_f32_e32 v45, v43, v45
	v_ldexp_f32 v38, v38, 1
	v_sub_f32_e32 v45, v41, v45
	v_add_f32_e32 v47, v38, v45
	v_mov_b32_e32 v46, v40
	v_pk_add_f32 v[40:41], v[42:43], v[40:41] neg_lo:[0,1] neg_hi:[0,1]
	v_pk_add_f32 v[54:55], v[42:43], v[46:47]
	v_mov_b32_e32 v41, v55
	v_mov_b32_e32 v45, v42
	v_pk_add_f32 v[56:57], v[44:45], v[40:41] neg_lo:[0,1] neg_hi:[0,1]
	v_pk_add_f32 v[40:41], v[44:45], v[40:41]
	v_mov_b32_e32 v38, v41
	v_pk_add_f32 v[44:45], v[38:39], v[42:43] neg_lo:[0,1] neg_hi:[0,1]
	v_mov_b32_e32 v45, v44
	v_pk_add_f32 v[58:59], v[54:55], v[44:45] neg_lo:[0,1] neg_hi:[0,1]
	v_mov_b32_e32 v40, v55
	v_mov_b32_e32 v54, v43
	;; [unrolled: 1-line block ×4, first 2 shown]
	v_pk_add_f32 v[40:41], v[40:41], v[54:55] neg_lo:[0,1] neg_hi:[0,1]
	v_mov_b32_e32 v44, v47
	v_mov_b32_e32 v45, v42
	v_pk_add_f32 v[40:41], v[44:45], v[40:41] neg_lo:[0,1] neg_hi:[0,1]
	v_mov_b32_e32 v58, v56
	v_pk_add_f32 v[42:43], v[58:59], v[40:41]
	v_mov_b32_e32 v44, v43
	v_pk_add_f32 v[44:45], v[42:43], v[44:45]
	v_pk_add_f32 v[46:47], v[38:39], v[44:45]
	v_mov_b32_e32 v43, v46
	v_pk_add_f32 v[54:55], v[42:43], v[56:57] neg_lo:[0,1] neg_hi:[0,1]
	v_mov_b32_e32 v41, v44
	v_sub_f32_e32 v38, v42, v54
	v_pk_add_f32 v[40:41], v[40:41], v[54:55] neg_lo:[0,1] neg_hi:[0,1]
	v_sub_f32_e32 v38, v56, v38
	v_add_f32_e32 v38, v40, v38
	v_cmp_eq_f32_e64 s[0:1], s2, v48
	s_mov_b32 s2, 0x33800000
	v_add_f32_e32 v38, v38, v41
	v_cmp_gt_f32_e64 s[2:3], s2, v48
	v_add_f32_e32 v38, v46, v38
	s_or_b64 s[0:1], s[2:3], s[0:1]
	v_cndmask_b32_e64 v38, v38, v48, s[0:1]
.LBB4_4:
	s_or_b64 exec, exec, s[8:9]
	s_load_dwordx4 s[12:15], s[4:5], 0x70
	s_mul_i32 s0, s6, s27
	v_pk_mul_f32 v[44:45], v[38:39], v[14:15] op_sel_hi:[0,1]
	s_mov_b32 s18, 0x3fb8aa3b
	v_mul_f32_e32 v51, 0x3fb8aa3b, v45
	s_waitcnt lgkmcnt(0)
	s_mul_i32 s1, s6, s15
	s_mul_hi_u32 s2, s6, s14
	s_mul_i32 s3, s6, s14
	s_add_i32 s1, s2, s1
	s_mul_hi_u32 s2, s3, 12
	s_mul_i32 s1, s1, 12
	s_add_i32 s1, s2, s1
	s_mul_i32 s3, s3, 12
	s_add_u32 s2, s22, s3
	s_addc_u32 s3, s23, s1
	s_ashr_i32 s8, s31, 2
	s_add_u32 s0, s10, s0
	s_addc_u32 s1, s11, 0
	s_add_u32 s4, s0, s16
	s_addc_u32 s5, s1, s17
	global_load_dword v48, v49, s[4:5]
	v_pk_mul_f32 v[46:47], v[38:39], v[16:17] op_sel_hi:[0,1]
	v_mul_f32_e32 v53, 0x3fb8aa3b, v44
	v_fma_f32 v60, v45, s18, -v51
	v_rndne_f32_e32 v61, v51
	v_mul_f32_e32 v54, 0x3fb8aa3b, v47
	v_fma_f32 v62, v44, s18, -v53
	v_rndne_f32_e32 v63, v53
	v_fmac_f32_e32 v60, 0x32a5705f, v45
	v_sub_f32_e32 v51, v51, v61
	v_mul_f32_e32 v55, 0x3fb8aa3b, v46
	v_fma_f32 v65, v47, s18, -v54
	v_rndne_f32_e32 v66, v54
	v_fmac_f32_e32 v62, 0x32a5705f, v44
	v_sub_f32_e32 v53, v53, v63
	v_add_f32_e32 v51, v51, v60
	v_fma_f32 v67, v46, s18, -v55
	v_rndne_f32_e32 v69, v55
	v_cvt_i32_f32_e32 v61, v61
	v_fmac_f32_e32 v65, 0x32a5705f, v47
	v_sub_f32_e32 v54, v54, v66
	v_add_f32_e32 v53, v53, v62
	v_exp_f32_e32 v51, v51
	v_cvt_i32_f32_e32 v63, v63
	v_fmac_f32_e32 v67, 0x32a5705f, v46
	v_sub_f32_e32 v55, v55, v69
	v_add_f32_e32 v54, v54, v65
	v_exp_f32_e32 v53, v53
	v_cvt_i32_f32_e32 v66, v66
	v_add_f32_e32 v55, v55, v67
	v_exp_f32_e32 v54, v54
	s_mov_b32 s7, 0xc2ce8ed0
	v_cvt_i32_f32_e32 v69, v69
	v_exp_f32_e32 v55, v55
	v_ldexp_f32 v51, v51, v61
	v_cmp_ngt_f32_e64 s[0:1], s7, v45
	v_ldexp_f32 v53, v53, v63
	v_cndmask_b32_e64 v51, 0, v51, s[0:1]
	v_cmp_ngt_f32_e64 s[0:1], s7, v44
	v_ldexp_f32 v54, v54, v66
	v_cndmask_b32_e64 v53, 0, v53, s[0:1]
	v_cmp_ngt_f32_e64 s[0:1], s7, v47
	v_mov_b32_e32 v64, 0
	s_mov_b32 s15, 0x42b17218
	v_ldexp_f32 v55, v55, v69
	v_cndmask_b32_e64 v54, 0, v54, s[0:1]
	v_cmp_ngt_f32_e64 s[0:1], s7, v46
	v_mov_b32_e32 v68, 0x7f800000
	ds_read_b128 v[40:43], v64
	ds_read_b128 v[56:59], v64 offset:16
	v_cndmask_b32_e64 v55, 0, v55, s[0:1]
	v_cmp_nlt_f32_e64 s[0:1], s15, v45
	v_cndmask_b32_e64 v45, v68, v51, s[0:1]
	v_cmp_nlt_f32_e64 s[0:1], s15, v44
	;; [unrolled: 2-line block ×4, first 2 shown]
	v_cndmask_b32_e64 v46, v68, v55, s[0:1]
	s_add_u32 s2, s2, s16
	v_mov_b32_e32 v51, s5
	v_add_co_u32_e64 v53, s[0:1], s4, v49
	s_addc_u32 s3, s3, s17
	v_addc_co_u32_e64 v55, s[0:1], 0, v51, s[0:1]
	v_mov_b32_e32 v54, s3
	v_add_co_u32_e64 v51, s[0:1], s2, v49
	v_addc_co_u32_e64 v54, s[0:1], 0, v54, s[0:1]
	s_ashr_i32 s10, s37, 2
	s_ashr_i32 s9, s8, 31
	;; [unrolled: 1-line block ×3, first 2 shown]
	s_waitcnt vmcnt(0)
	v_mul_f32_e32 v48, v38, v48
	s_waitcnt lgkmcnt(1)
	v_pk_mul_f32 v[40:41], v[48:49], v[40:41] op_sel_hi:[0,1]
	v_pk_mul_f32 v[42:43], v[48:49], v[42:43] op_sel_hi:[0,1]
	v_pk_fma_f32 v[40:41], v[30:31], v[44:45], v[40:41]
	v_pk_fma_f32 v[42:43], v[32:33], v[46:47], v[42:43]
	ds_read_b128 v[30:33], v64 offset:64
	ds_read_b128 v[60:63], v64 offset:80
	v_pk_mul_f32 v[44:45], v[38:39], v[10:11] op_sel_hi:[0,1]
	v_mul_f32_e32 v46, 0x3fb8aa3b, v45
	v_fma_f32 v47, v45, s18, -v46
	s_waitcnt lgkmcnt(1)
	v_fma_f32 v69, v30, v40, 0
	v_rndne_f32_e32 v65, v46
	v_fmac_f32_e32 v69, v31, v41
	v_fmac_f32_e32 v47, 0x32a5705f, v45
	v_sub_f32_e32 v46, v46, v65
	v_fmac_f32_e32 v69, v32, v42
	v_mul_f32_e32 v31, 0x3fb8aa3b, v44
	v_add_f32_e32 v46, v46, v47
	v_fmac_f32_e32 v69, v33, v43
	v_fma_f32 v32, v44, s18, -v31
	v_rndne_f32_e32 v33, v31
	v_exp_f32_e32 v30, v46
	v_cvt_i32_f32_e32 v46, v65
	v_fmac_f32_e32 v32, 0x32a5705f, v44
	v_sub_f32_e32 v31, v31, v33
	v_add_f32_e32 v31, v31, v32
	v_exp_f32_e32 v32, v31
	v_cvt_i32_f32_e32 v33, v33
	v_ldexp_f32 v30, v30, v46
	v_cmp_ngt_f32_e64 s[0:1], s7, v45
	v_cndmask_b32_e64 v30, 0, v30, s[0:1]
	v_cmp_nlt_f32_e64 s[0:1], s15, v45
	v_cndmask_b32_e64 v31, v68, v30, s[0:1]
	v_ldexp_f32 v30, v32, v33
	v_pk_mul_f32 v[32:33], v[38:39], v[12:13] op_sel_hi:[0,1]
	v_mul_f32_e32 v45, 0x3fb8aa3b, v33
	v_fma_f32 v46, v33, s18, -v45
	v_rndne_f32_e32 v47, v45
	v_cmp_ngt_f32_e64 s[0:1], s7, v44
	v_fmac_f32_e32 v46, 0x32a5705f, v33
	v_sub_f32_e32 v45, v45, v47
	v_cndmask_b32_e64 v30, 0, v30, s[0:1]
	v_add_f32_e32 v45, v45, v46
	v_cmp_nlt_f32_e64 s[0:1], s15, v44
	v_exp_f32_e32 v65, v45
	v_cndmask_b32_e64 v30, v68, v30, s[0:1]
	v_pk_mul_f32 v[44:45], v[48:49], v[56:57] op_sel_hi:[0,1]
	v_cvt_i32_f32_e32 v66, v47
	v_pk_fma_f32 v[46:47], v[26:27], v[30:31], v[44:45]
	v_mul_f32_e32 v27, 0x3fb8aa3b, v32
	v_fma_f32 v30, v32, s18, -v27
	v_rndne_f32_e32 v31, v27
	v_fmac_f32_e32 v30, 0x32a5705f, v32
	v_sub_f32_e32 v27, v27, v31
	v_add_f32_e32 v27, v27, v30
	v_exp_f32_e32 v30, v27
	v_cvt_i32_f32_e32 v31, v31
	v_ldexp_f32 v26, v65, v66
	v_cmp_ngt_f32_e64 s[0:1], s7, v33
	v_cndmask_b32_e64 v26, 0, v26, s[0:1]
	v_cmp_nlt_f32_e64 s[0:1], s15, v33
	v_cndmask_b32_e64 v27, v68, v26, s[0:1]
	v_ldexp_f32 v26, v30, v31
	v_cmp_ngt_f32_e64 s[0:1], s7, v32
	v_cndmask_b32_e64 v26, 0, v26, s[0:1]
	v_cmp_nlt_f32_e64 s[0:1], s15, v32
	v_cndmask_b32_e64 v26, v68, v26, s[0:1]
	v_pk_mul_f32 v[30:31], v[48:49], v[58:59] op_sel_hi:[0,1]
	v_pk_mul_f32 v[32:33], v[38:39], v[6:7] op_sel_hi:[0,1]
	v_pk_fma_f32 v[26:27], v[28:29], v[26:27], v[30:31]
	v_mul_f32_e32 v28, 0x3fb8aa3b, v33
	v_fma_f32 v29, v33, s18, -v28
	v_rndne_f32_e32 v44, v28
	v_fmac_f32_e32 v29, 0x32a5705f, v33
	v_sub_f32_e32 v28, v28, v44
	v_add_f32_e32 v45, v28, v29
	v_exp_f32_e32 v45, v45
	v_cvt_i32_f32_e32 v44, v44
	s_waitcnt lgkmcnt(0)
	v_fmac_f32_e32 v69, v60, v46
	v_fmac_f32_e32 v69, v61, v47
	v_cmp_ngt_f32_e64 s[0:1], s7, v33
	v_ldexp_f32 v44, v45, v44
	v_mul_f32_e32 v45, 0x3fb8aa3b, v32
	v_fma_f32 v60, v32, s18, -v45
	v_rndne_f32_e32 v61, v45
	v_fmac_f32_e32 v60, 0x32a5705f, v32
	v_sub_f32_e32 v45, v45, v61
	v_add_f32_e32 v45, v45, v60
	v_exp_f32_e32 v45, v45
	v_cvt_i32_f32_e32 v60, v61
	v_cndmask_b32_e64 v44, 0, v44, s[0:1]
	v_cmp_nlt_f32_e64 s[0:1], s15, v33
	ds_read_b128 v[28:31], v64 offset:32
	ds_read_b128 v[56:59], v64 offset:48
	v_cndmask_b32_e64 v33, v68, v44, s[0:1]
	v_ldexp_f32 v44, v45, v60
	v_pk_mul_f32 v[60:61], v[38:39], v[8:9] op_sel_hi:[0,1]
	v_fmac_f32_e32 v69, v62, v26
	v_mul_f32_e32 v45, 0x3fb8aa3b, v61
	v_fmac_f32_e32 v69, v63, v27
	v_cmp_ngt_f32_e64 s[0:1], s7, v32
	v_fma_f32 v62, v61, s18, -v45
	v_rndne_f32_e32 v63, v45
	v_cndmask_b32_e64 v44, 0, v44, s[0:1]
	v_fmac_f32_e32 v62, 0x32a5705f, v61
	v_sub_f32_e32 v45, v45, v63
	v_cmp_nlt_f32_e64 s[0:1], s15, v32
	v_add_f32_e32 v45, v45, v62
	v_cndmask_b32_e64 v32, v68, v44, s[0:1]
	s_waitcnt lgkmcnt(1)
	v_pk_mul_f32 v[28:29], v[48:49], v[28:29] op_sel_hi:[0,1]
	v_exp_f32_e32 v62, v45
	v_pk_fma_f32 v[44:45], v[22:23], v[32:33], v[28:29]
	v_mul_f32_e32 v23, 0x3fb8aa3b, v60
	v_fma_f32 v28, v60, s18, -v23
	v_rndne_f32_e32 v29, v23
	v_cvt_i32_f32_e32 v63, v63
	v_fmac_f32_e32 v28, 0x32a5705f, v60
	v_sub_f32_e32 v23, v23, v29
	v_add_f32_e32 v23, v23, v28
	v_exp_f32_e32 v28, v23
	v_cvt_i32_f32_e32 v29, v29
	v_ldexp_f32 v22, v62, v63
	v_cmp_ngt_f32_e64 s[0:1], s7, v61
	v_cndmask_b32_e64 v22, 0, v22, s[0:1]
	v_cmp_nlt_f32_e64 s[0:1], s15, v61
	v_cndmask_b32_e64 v23, v68, v22, s[0:1]
	v_ldexp_f32 v22, v28, v29
	v_cmp_ngt_f32_e64 s[0:1], s7, v60
	v_cndmask_b32_e64 v22, 0, v22, s[0:1]
	v_cmp_nlt_f32_e64 s[0:1], s15, v60
	v_cndmask_b32_e64 v22, v68, v22, s[0:1]
	v_pk_mul_f32 v[28:29], v[48:49], v[30:31] op_sel_hi:[0,1]
	v_pk_fma_f32 v[22:23], v[24:25], v[22:23], v[28:29]
	v_pk_mul_f32 v[24:25], v[38:39], v[2:3] op_sel_hi:[0,1]
	v_mul_f32_e32 v28, 0x3fb8aa3b, v25
	v_fma_f32 v29, v25, s18, -v28
	v_rndne_f32_e32 v30, v28
	v_fmac_f32_e32 v29, 0x32a5705f, v25
	v_sub_f32_e32 v28, v28, v30
	v_add_f32_e32 v28, v28, v29
	v_exp_f32_e32 v28, v28
	v_cvt_i32_f32_e32 v29, v30
	v_cmp_ngt_f32_e64 s[0:1], s7, v25
	v_pk_mul_f32 v[32:33], v[38:39], v[4:5] op_sel_hi:[0,1]
	ds_read_b128 v[60:63], v64 offset:96
	v_ldexp_f32 v28, v28, v29
	v_mul_f32_e32 v29, 0x3fb8aa3b, v24
	v_fma_f32 v30, v24, s18, -v29
	v_rndne_f32_e32 v31, v29
	v_fmac_f32_e32 v30, 0x32a5705f, v24
	v_sub_f32_e32 v29, v29, v31
	v_add_f32_e32 v29, v29, v30
	v_exp_f32_e32 v29, v29
	v_cvt_i32_f32_e32 v30, v31
	v_cndmask_b32_e64 v28, 0, v28, s[0:1]
	v_cmp_nlt_f32_e64 s[0:1], s15, v25
	v_cndmask_b32_e64 v25, v68, v28, s[0:1]
	v_ldexp_f32 v28, v29, v30
	v_mul_f32_e32 v30, 0x3fb8aa3b, v33
	v_cmp_ngt_f32_e64 s[0:1], s7, v24
	v_fma_f32 v31, v33, s18, -v30
	v_rndne_f32_e32 v38, v30
	v_cndmask_b32_e64 v28, 0, v28, s[0:1]
	v_cmp_nlt_f32_e64 s[0:1], s15, v24
	v_fmac_f32_e32 v31, 0x32a5705f, v33
	v_sub_f32_e32 v30, v30, v38
	v_cndmask_b32_e64 v24, v68, v28, s[0:1]
	s_waitcnt lgkmcnt(1)
	v_pk_mul_f32 v[28:29], v[48:49], v[56:57] op_sel_hi:[0,1]
	v_add_f32_e32 v30, v30, v31
	v_exp_f32_e32 v56, v30
	v_pk_fma_f32 v[30:31], v[18:19], v[24:25], v[28:29]
	v_mul_f32_e32 v19, 0x3fb8aa3b, v32
	v_fma_f32 v24, v32, s18, -v19
	v_rndne_f32_e32 v25, v19
	v_cvt_i32_f32_e32 v38, v38
	v_fmac_f32_e32 v24, 0x32a5705f, v32
	v_sub_f32_e32 v19, v19, v25
	v_add_f32_e32 v19, v19, v24
	v_exp_f32_e32 v24, v19
	v_cvt_i32_f32_e32 v25, v25
	ds_read_b128 v[64:67], v64 offset:112
	s_waitcnt lgkmcnt(1)
	v_fmac_f32_e32 v69, v60, v44
	v_ldexp_f32 v18, v56, v38
	v_cmp_ngt_f32_e64 s[0:1], s7, v33
	v_fmac_f32_e32 v69, v61, v45
	v_cndmask_b32_e64 v18, 0, v18, s[0:1]
	v_cmp_nlt_f32_e64 s[0:1], s15, v33
	v_fmac_f32_e32 v69, v62, v22
	v_cndmask_b32_e64 v19, v68, v18, s[0:1]
	v_ldexp_f32 v18, v24, v25
	v_cmp_ngt_f32_e64 s[0:1], s7, v32
	v_fmac_f32_e32 v69, v63, v23
	v_cndmask_b32_e64 v18, 0, v18, s[0:1]
	v_cmp_nlt_f32_e64 s[0:1], s15, v32
	s_waitcnt lgkmcnt(0)
	v_fmac_f32_e32 v69, v64, v30
	v_cndmask_b32_e64 v18, v68, v18, s[0:1]
	v_pk_mul_f32 v[24:25], v[48:49], v[58:59] op_sel_hi:[0,1]
	v_fmac_f32_e32 v69, v65, v31
	v_pk_fma_f32 v[32:33], v[20:21], v[18:19], v[24:25]
	v_fmac_f32_e32 v69, v66, v32
	v_fmac_f32_e32 v69, v67, v33
	global_store_dword v49, v69, s[2:3]
	s_barrier
	s_and_saveexec_b64 s[2:3], vcc
	s_cbranch_execz .LBB4_6
; %bb.5:
	s_lshl_b64 s[0:1], s[8:9], 2
	v_mov_b32_e32 v19, s1
	v_add_co_u32_e64 v18, s[0:1], s0, v36
	v_addc_co_u32_e64 v19, s[0:1], v37, v19, s[0:1]
	s_lshl_b64 s[0:1], s[10:11], 2
	global_load_dword v20, v[18:19], off
	v_mov_b32_e32 v19, s1
	v_add_co_u32_e64 v18, s[0:1], s0, v0
	v_addc_co_u32_e64 v19, s[0:1], v1, v19, s[0:1]
	global_load_dword v18, v[18:19], off
	s_waitcnt vmcnt(1)
	ds_write_b32 v49, v20
	s_waitcnt vmcnt(0)
	ds_write_b32 v52, v18
.LBB4_6:
	s_or_b64 exec, exec, s[2:3]
	s_ashr_i32 s0, s28, 2
	s_ashr_i32 s1, s0, 31
	s_lshl_b64 s[18:19], s[0:1], 2
	v_mov_b32_e32 v18, s19
	v_add_co_u32_e64 v28, s[0:1], s18, v39
	v_addc_co_u32_e64 v29, s[0:1], v50, v18, s[0:1]
	s_waitcnt lgkmcnt(0)
	s_barrier
	global_load_dword v48, v[28:29], off
	s_mov_b32 s0, 0x41a00000
	s_waitcnt vmcnt(0)
	v_cmp_ge_f32_e64 s[0:1], s0, v48
	s_and_saveexec_b64 s[4:5], s[0:1]
	s_cbranch_execz .LBB4_8
; %bb.7:
	v_mul_f32_e32 v18, 0x3fb8aa3b, v48
	s_mov_b32 s0, 0x3fb8aa3b
	v_rndne_f32_e32 v19, v18
	v_sub_f32_e32 v20, v18, v19
	v_fma_f32 v18, v48, s0, -v18
	v_fmac_f32_e32 v18, 0x32a5705f, v48
	v_add_f32_e32 v18, v20, v18
	v_exp_f32_e32 v18, v18
	v_cvt_i32_f32_e32 v19, v19
	s_mov_b32 s0, 0xc2ce8ed0
	v_cmp_ngt_f32_e64 s[0:1], s0, v48
	s_mov_b32 s2, 0x7f800000
	v_ldexp_f32 v18, v18, v19
	v_cndmask_b32_e64 v18, 0, v18, s[0:1]
	s_mov_b32 s0, 0x42b17218
	v_mov_b32_e32 v19, 0x7f800000
	v_cmp_nlt_f32_e64 s[0:1], s0, v48
	v_cndmask_b32_e64 v48, v19, v18, s[0:1]
	v_add_f32_e32 v20, 1.0, v48
	v_add_f32_e32 v18, -1.0, v20
	v_sub_f32_e32 v19, v18, v20
	v_add_f32_e32 v19, 1.0, v19
	v_sub_f32_e32 v18, v48, v18
	v_add_f32_e32 v21, v18, v19
	v_frexp_mant_f32_e32 v24, v20
	s_mov_b32 s0, 0x3f2aaaab
	v_cvt_f64_f32_e32 v[18:19], v20
	v_frexp_exp_i32_f64_e32 v18, v[18:19]
	v_cmp_gt_f32_e64 s[0:1], s0, v24
	v_subbrev_co_u32_e64 v50, s[0:1], 0, v18, s[0:1]
	v_sub_u32_e32 v18, 0, v50
	v_ldexp_f32 v19, v20, v18
	v_add_f32_e32 v20, -1.0, v19
	v_add_f32_e32 v24, 1.0, v19
	v_ldexp_f32 v18, v21, v18
	v_add_f32_e32 v21, 1.0, v20
	v_add_f32_e32 v25, -1.0, v24
	v_sub_f32_e32 v21, v19, v21
	v_sub_f32_e32 v19, v19, v25
	v_add_f32_e32 v21, v18, v21
	v_add_f32_e32 v18, v18, v19
	;; [unrolled: 1-line block ×3, first 2 shown]
	v_rcp_f32_e32 v58, v56
	v_sub_f32_e32 v19, v24, v56
	v_add_f32_e32 v57, v18, v19
	v_add_f32_e32 v19, v20, v21
	v_mul_f32_e32 v60, v19, v58
	v_sub_f32_e32 v18, v20, v19
	v_mul_f32_e32 v20, v56, v60
	v_fma_f32 v24, v60, v56, -v20
	v_fmac_f32_e32 v24, v60, v57
	v_add_f32_e32 v59, v21, v18
	v_add_f32_e32 v18, v20, v24
	v_sub_f32_e32 v21, v19, v18
	v_pk_add_f32 v[38:39], v[18:19], v[20:21] neg_lo:[0,1] neg_hi:[0,1]
	v_mov_b32_e32 v25, v18
	v_pk_add_f32 v[18:19], v[38:39], v[24:25] neg_lo:[0,1] neg_hi:[0,1]
	v_add_f32_e32 v19, v59, v19
	v_add_f32_e32 v18, v18, v19
	;; [unrolled: 1-line block ×3, first 2 shown]
	v_mul_f32_e32 v59, v58, v19
	v_mul_f32_e32 v20, v56, v59
	v_fma_f32 v24, v59, v56, -v20
	v_fmac_f32_e32 v24, v59, v57
	v_sub_f32_e32 v21, v21, v19
	v_add_f32_e32 v56, v18, v21
	v_add_f32_e32 v18, v20, v24
	v_sub_f32_e32 v21, v19, v18
	v_pk_add_f32 v[38:39], v[18:19], v[20:21] neg_lo:[0,1] neg_hi:[0,1]
	v_mov_b32_e32 v25, v18
	v_pk_add_f32 v[18:19], v[38:39], v[24:25] neg_lo:[0,1] neg_hi:[0,1]
	v_add_f32_e32 v19, v56, v19
	v_add_f32_e32 v18, v18, v19
	v_add_f32_e32 v18, v21, v18
	v_add_f32_e32 v21, v60, v59
	v_sub_f32_e32 v19, v21, v60
	v_mul_f32_e32 v18, v58, v18
	v_sub_f32_e32 v19, v59, v19
	v_add_f32_e32 v18, v19, v18
	v_add_f32_e32 v24, v21, v18
	v_mul_f32_e32 v38, v24, v24
	v_mov_b32_e32 v20, 0x3ecc95a3
	v_fmac_f32_e32 v20, 0x3e9b6dac, v38
	v_mov_b32_e32 v19, 0x3f2aaada
	v_fmac_f32_e32 v19, v38, v20
	v_cvt_f32_i32_e32 v20, v50
	v_sub_f32_e32 v21, v24, v21
	v_sub_f32_e32 v18, v18, v21
	v_ldexp_f32 v39, v18, 1
	v_mul_f32_e32 v21, v24, v38
	v_mov_b32_e32 v18, 0x3f317218
	s_mov_b32 s0, 0x3f317218
	v_pk_mul_f32 v[18:19], v[20:21], v[18:19]
	v_ldexp_f32 v25, v24, 1
	v_fma_f32 v24, v20, s0, -v18
	v_fmac_f32_e32 v24, 0xb102e308, v20
	v_pk_add_f32 v[20:21], v[18:19], v[24:25]
	v_sub_f32_e32 v25, v21, v25
	v_sub_f32_e32 v25, v19, v25
	v_add_f32_e32 v39, v39, v25
	v_mov_b32_e32 v38, v18
	v_pk_add_f32 v[18:19], v[20:21], v[18:19] neg_lo:[0,1] neg_hi:[0,1]
	v_pk_add_f32 v[56:57], v[20:21], v[38:39]
	v_mov_b32_e32 v19, v57
	v_mov_b32_e32 v25, v20
	v_pk_add_f32 v[58:59], v[24:25], v[18:19] neg_lo:[0,1] neg_hi:[0,1]
	v_pk_add_f32 v[18:19], v[24:25], v[18:19]
	v_mov_b32_e32 v24, v19
	v_pk_add_f32 v[60:61], v[24:25], v[20:21] neg_lo:[0,1] neg_hi:[0,1]
	v_mov_b32_e32 v25, v60
	v_pk_add_f32 v[62:63], v[56:57], v[24:25] neg_lo:[0,1] neg_hi:[0,1]
	v_mov_b32_e32 v18, v57
	v_mov_b32_e32 v56, v21
	;; [unrolled: 1-line block ×4, first 2 shown]
	v_pk_add_f32 v[18:19], v[18:19], v[56:57] neg_lo:[0,1] neg_hi:[0,1]
	v_mov_b32_e32 v38, v39
	v_mov_b32_e32 v39, v20
	v_pk_add_f32 v[18:19], v[38:39], v[18:19] neg_lo:[0,1] neg_hi:[0,1]
	v_mov_b32_e32 v62, v58
	v_pk_add_f32 v[20:21], v[62:63], v[18:19]
	v_mov_b32_e32 v38, v21
	v_pk_add_f32 v[38:39], v[20:21], v[38:39]
	v_pk_add_f32 v[24:25], v[24:25], v[38:39]
	v_mov_b32_e32 v21, v24
	v_pk_add_f32 v[56:57], v[20:21], v[58:59] neg_lo:[0,1] neg_hi:[0,1]
	v_mov_b32_e32 v19, v38
	v_sub_f32_e32 v20, v20, v56
	v_pk_add_f32 v[18:19], v[18:19], v[56:57] neg_lo:[0,1] neg_hi:[0,1]
	v_sub_f32_e32 v20, v58, v20
	v_add_f32_e32 v18, v18, v20
	v_cmp_eq_f32_e64 s[0:1], s2, v48
	s_mov_b32 s2, 0x33800000
	v_add_f32_e32 v18, v18, v19
	v_cmp_gt_f32_e64 s[2:3], s2, v48
	v_add_f32_e32 v18, v24, v18
	s_or_b64 s[0:1], s[2:3], s[0:1]
	v_cndmask_b32_e64 v48, v18, v48, s[0:1]
.LBB4_8:
	s_or_b64 exec, exec, s[4:5]
	s_ashr_i32 s0, s26, 2
	s_ashr_i32 s1, s0, 31
	s_lshl_b64 s[20:21], s[0:1], 2
	v_mov_b32_e32 v18, s21
	v_add_co_u32_e64 v38, s[0:1], s20, v53
	v_addc_co_u32_e64 v39, s[0:1], v55, v18, s[0:1]
	global_load_dword v50, v[38:39], off
	v_pk_mul_f32 v[60:61], v[48:49], v[14:15] op_sel_hi:[0,1]
	s_mov_b32 s15, 0x3fb8aa3b
	v_pk_mul_f32 v[24:25], v[48:49], v[16:17] op_sel_hi:[0,1]
	v_mul_f32_e32 v62, 0x3fb8aa3b, v61
	v_mul_f32_e32 v63, 0x3fb8aa3b, v60
	;; [unrolled: 1-line block ×3, first 2 shown]
	v_fma_f32 v67, v61, s15, -v62
	v_rndne_f32_e32 v73, v62
	v_mul_f32_e32 v65, 0x3fb8aa3b, v24
	v_fma_f32 v70, v60, s15, -v63
	v_fma_f32 v71, v25, s15, -v64
	v_rndne_f32_e32 v74, v63
	v_rndne_f32_e32 v75, v64
	v_fmac_f32_e32 v67, 0x32a5705f, v61
	v_sub_f32_e32 v62, v62, v73
	v_fma_f32 v72, v24, s15, -v65
	v_rndne_f32_e32 v76, v65
	v_add_f32_e32 v62, v62, v67
	v_fmac_f32_e32 v70, 0x32a5705f, v60
	v_sub_f32_e32 v63, v63, v74
	v_fmac_f32_e32 v71, 0x32a5705f, v25
	v_sub_f32_e32 v64, v64, v75
	v_add_f32_e32 v63, v63, v70
	v_fmac_f32_e32 v72, 0x32a5705f, v24
	v_cvt_i32_f32_e32 v73, v73
	v_sub_f32_e32 v65, v65, v76
	v_add_f32_e32 v64, v64, v71
	v_exp_f32_e32 v62, v62
	v_pk_mul_f32 v[68:69], v[48:49], v[10:11] op_sel_hi:[0,1]
	v_cvt_i32_f32_e32 v74, v74
	v_cvt_i32_f32_e32 v75, v75
	v_add_f32_e32 v65, v65, v72
	v_exp_f32_e32 v63, v63
	v_exp_f32_e32 v64, v64
	v_mul_f32_e32 v66, 0x3fb8aa3b, v69
	v_cvt_i32_f32_e32 v76, v76
	v_exp_f32_e32 v72, v65
	v_mov_b32_e32 v55, 0
	v_fma_f32 v67, v69, s15, -v66
	v_rndne_f32_e32 v70, v66
	s_mov_b32 s17, s14
	s_mov_b32 s14, 0x42b17218
	ds_read_b128 v[56:59], v55
	ds_read_b128 v[18:21], v55 offset:16
	v_fmac_f32_e32 v67, 0x32a5705f, v69
	v_sub_f32_e32 v66, v66, v70
	v_ldexp_f32 v62, v62, v73
	v_cmp_ngt_f32_e64 s[0:1], s7, v61
	v_mov_b32_e32 v53, 0x7f800000
	v_add_f32_e32 v71, v66, v67
	v_ldexp_f32 v63, v63, v74
	v_ldexp_f32 v73, v64, v75
	v_cndmask_b32_e64 v74, 0, v62, s[0:1]
	v_cmp_nlt_f32_e64 s[0:1], s14, v61
	v_cmp_ngt_f32_e64 s[4:5], s7, v25
	v_cvt_i32_f32_e32 v77, v70
	v_exp_f32_e32 v78, v71
	v_ldexp_f32 v70, v72, v76
	v_cndmask_b32_e64 v72, 0, v73, s[4:5]
	v_cmp_ngt_f32_e64 s[4:5], s7, v24
	v_cndmask_b32_e64 v71, v53, v74, s[0:1]
	v_cmp_nlt_f32_e64 s[0:1], s14, v25
	v_cmp_ngt_f32_e64 s[2:3], s7, v60
	v_cndmask_b32_e64 v73, 0, v70, s[4:5]
	v_cndmask_b32_e64 v25, v53, v72, s[0:1]
	v_cmp_nlt_f32_e64 s[0:1], s14, v24
	v_cndmask_b32_e64 v75, 0, v63, s[2:3]
	v_cmp_nlt_f32_e64 s[2:3], s14, v60
	v_cndmask_b32_e64 v24, v53, v73, s[0:1]
	v_cndmask_b32_e64 v70, v53, v75, s[2:3]
	ds_read_b128 v[60:63], v55 offset:64
	ds_read_b128 v[64:67], v55 offset:80
	v_cmp_ngt_f32_e64 s[0:1], s7, v69
	s_mov_b32 s16, 0
	s_waitcnt vmcnt(0)
	v_mul_f32_e32 v50, v48, v50
	s_waitcnt lgkmcnt(3)
	v_pk_mul_f32 v[58:59], v[50:51], v[58:59] op_sel_hi:[0,1]
	v_pk_mul_f32 v[56:57], v[50:51], v[56:57] op_sel_hi:[0,1]
	v_pk_fma_f32 v[42:43], v[42:43], v[24:25], v[58:59]
	v_mul_f32_e32 v25, 0x3fb8aa3b, v68
	v_pk_fma_f32 v[40:41], v[40:41], v[70:71], v[56:57]
	v_fma_f32 v56, v68, s15, -v25
	v_rndne_f32_e32 v57, v25
	v_fmac_f32_e32 v56, 0x32a5705f, v68
	v_sub_f32_e32 v25, v25, v57
	v_add_f32_e32 v25, v25, v56
	v_exp_f32_e32 v56, v25
	v_cvt_i32_f32_e32 v57, v57
	v_ldexp_f32 v24, v78, v77
	v_cndmask_b32_e64 v24, 0, v24, s[0:1]
	v_cmp_nlt_f32_e64 s[0:1], s14, v69
	v_cndmask_b32_e64 v25, v53, v24, s[0:1]
	v_ldexp_f32 v24, v56, v57
	v_cmp_ngt_f32_e64 s[0:1], s7, v68
	v_pk_mul_f32 v[56:57], v[48:49], v[12:13] op_sel_hi:[0,1]
	v_cndmask_b32_e64 v24, 0, v24, s[0:1]
	v_mul_f32_e32 v58, 0x3fb8aa3b, v57
	v_cmp_nlt_f32_e64 s[0:1], s14, v68
	s_waitcnt lgkmcnt(1)
	v_fma_f32 v70, v60, v40, 0
	v_fma_f32 v59, v57, s15, -v58
	v_rndne_f32_e32 v60, v58
	v_cndmask_b32_e64 v24, v53, v24, s[0:1]
	v_pk_mul_f32 v[18:19], v[50:51], v[18:19] op_sel_hi:[0,1]
	v_fmac_f32_e32 v59, 0x32a5705f, v57
	v_sub_f32_e32 v58, v58, v60
	v_pk_fma_f32 v[24:25], v[46:47], v[24:25], v[18:19]
	v_mul_f32_e32 v19, 0x3fb8aa3b, v56
	v_add_f32_e32 v58, v58, v59
	v_fma_f32 v46, v56, s15, -v19
	v_rndne_f32_e32 v47, v19
	v_exp_f32_e32 v58, v58
	v_cvt_i32_f32_e32 v59, v60
	v_fmac_f32_e32 v46, 0x32a5705f, v56
	v_sub_f32_e32 v19, v19, v47
	v_add_f32_e32 v19, v19, v46
	v_exp_f32_e32 v46, v19
	v_cvt_i32_f32_e32 v47, v47
	v_ldexp_f32 v18, v58, v59
	v_cmp_ngt_f32_e64 s[0:1], s7, v57
	v_cndmask_b32_e64 v18, 0, v18, s[0:1]
	v_cmp_nlt_f32_e64 s[0:1], s14, v57
	v_cndmask_b32_e64 v19, v53, v18, s[0:1]
	v_ldexp_f32 v18, v46, v47
	v_cmp_ngt_f32_e64 s[0:1], s7, v56
	v_cndmask_b32_e64 v18, 0, v18, s[0:1]
	v_cmp_nlt_f32_e64 s[0:1], s14, v56
	v_cndmask_b32_e64 v18, v53, v18, s[0:1]
	v_pk_mul_f32 v[20:21], v[50:51], v[20:21] op_sel_hi:[0,1]
	v_pk_mul_f32 v[46:47], v[48:49], v[6:7] op_sel_hi:[0,1]
	v_pk_fma_f32 v[20:21], v[26:27], v[18:19], v[20:21]
	v_mul_f32_e32 v18, 0x3fb8aa3b, v47
	v_fma_f32 v19, v47, s15, -v18
	v_rndne_f32_e32 v26, v18
	v_fmac_f32_e32 v19, 0x32a5705f, v47
	v_sub_f32_e32 v18, v18, v26
	v_add_f32_e32 v18, v18, v19
	v_exp_f32_e32 v18, v18
	v_cvt_i32_f32_e32 v19, v26
	v_fmac_f32_e32 v70, v61, v41
	v_cmp_ngt_f32_e64 s[0:1], s7, v47
	v_fmac_f32_e32 v70, v62, v42
	v_ldexp_f32 v18, v18, v19
	v_mul_f32_e32 v19, 0x3fb8aa3b, v46
	v_fma_f32 v26, v46, s15, -v19
	v_rndne_f32_e32 v27, v19
	v_fmac_f32_e32 v26, 0x32a5705f, v46
	v_sub_f32_e32 v19, v19, v27
	v_add_f32_e32 v19, v19, v26
	v_exp_f32_e32 v26, v19
	v_cvt_i32_f32_e32 v27, v27
	v_cndmask_b32_e64 v18, 0, v18, s[0:1]
	v_cmp_nlt_f32_e64 s[0:1], s14, v47
	v_pk_mul_f32 v[68:69], v[48:49], v[8:9] op_sel_hi:[0,1]
	v_fmac_f32_e32 v70, v63, v43
	ds_read_b128 v[56:59], v55 offset:32
	ds_read_b128 v[60:63], v55 offset:48
	v_cndmask_b32_e64 v19, v53, v18, s[0:1]
	v_ldexp_f32 v18, v26, v27
	v_mul_f32_e32 v26, 0x3fb8aa3b, v69
	v_fma_f32 v27, v69, s15, -v26
	v_rndne_f32_e32 v47, v26
	v_cmp_ngt_f32_e64 s[0:1], s7, v46
	v_fmac_f32_e32 v27, 0x32a5705f, v69
	v_sub_f32_e32 v26, v26, v47
	v_cndmask_b32_e64 v18, 0, v18, s[0:1]
	v_add_f32_e32 v26, v26, v27
	v_cmp_nlt_f32_e64 s[0:1], s14, v46
	s_waitcnt lgkmcnt(2)
	v_fmac_f32_e32 v70, v64, v24
	v_exp_f32_e32 v64, v26
	v_cvt_i32_f32_e32 v47, v47
	v_cndmask_b32_e64 v18, v53, v18, s[0:1]
	s_waitcnt lgkmcnt(1)
	v_pk_mul_f32 v[26:27], v[50:51], v[56:57] op_sel_hi:[0,1]
	v_pk_fma_f32 v[26:27], v[44:45], v[18:19], v[26:27]
	v_mul_f32_e32 v19, 0x3fb8aa3b, v68
	v_fma_f32 v56, v68, s15, -v19
	v_rndne_f32_e32 v57, v19
	v_fmac_f32_e32 v56, 0x32a5705f, v68
	v_sub_f32_e32 v19, v19, v57
	v_ldexp_f32 v18, v64, v47
	ds_read_b128 v[44:47], v55 offset:96
	v_add_f32_e32 v19, v19, v56
	v_exp_f32_e32 v19, v19
	v_cvt_i32_f32_e32 v56, v57
	v_fmac_f32_e32 v70, v65, v25
	v_fmac_f32_e32 v70, v66, v20
	v_cmp_ngt_f32_e64 s[0:1], s7, v69
	v_fmac_f32_e32 v70, v67, v21
	ds_read_b128 v[64:67], v55 offset:112
	v_cndmask_b32_e64 v18, 0, v18, s[0:1]
	v_cmp_nlt_f32_e64 s[0:1], s14, v69
	s_waitcnt lgkmcnt(1)
	v_fmac_f32_e32 v70, v44, v26
	v_ldexp_f32 v44, v19, v56
	v_cndmask_b32_e64 v19, v53, v18, s[0:1]
	v_cmp_ngt_f32_e64 s[0:1], s7, v68
	v_cndmask_b32_e64 v18, 0, v44, s[0:1]
	v_cmp_nlt_f32_e64 s[0:1], s14, v68
	v_pk_mul_f32 v[56:57], v[50:51], v[58:59] op_sel_hi:[0,1]
	v_pk_mul_f32 v[58:59], v[48:49], v[2:3] op_sel_hi:[0,1]
	v_cndmask_b32_e64 v18, v53, v18, s[0:1]
	v_mul_f32_e32 v44, 0x3fb8aa3b, v59
	v_pk_fma_f32 v[22:23], v[22:23], v[18:19], v[56:57]
	v_fma_f32 v18, v59, s15, -v44
	v_rndne_f32_e32 v19, v44
	v_fmac_f32_e32 v18, 0x32a5705f, v59
	v_sub_f32_e32 v44, v44, v19
	v_add_f32_e32 v18, v44, v18
	v_exp_f32_e32 v18, v18
	v_cvt_i32_f32_e32 v19, v19
	v_fmac_f32_e32 v70, v45, v27
	v_cmp_ngt_f32_e64 s[0:1], s7, v59
	v_fmac_f32_e32 v70, v46, v22
	v_ldexp_f32 v18, v18, v19
	v_mul_f32_e32 v19, 0x3fb8aa3b, v58
	v_fma_f32 v44, v58, s15, -v19
	v_rndne_f32_e32 v45, v19
	v_fmac_f32_e32 v44, 0x32a5705f, v58
	v_sub_f32_e32 v19, v19, v45
	v_add_f32_e32 v19, v19, v44
	v_exp_f32_e32 v44, v19
	v_cvt_i32_f32_e32 v45, v45
	v_cndmask_b32_e64 v18, 0, v18, s[0:1]
	v_cmp_nlt_f32_e64 s[0:1], s14, v59
	v_fmac_f32_e32 v70, v47, v23
	v_cndmask_b32_e64 v19, v53, v18, s[0:1]
	v_ldexp_f32 v18, v44, v45
	v_cmp_ngt_f32_e64 s[0:1], s7, v58
	v_pk_mul_f32 v[46:47], v[48:49], v[4:5] op_sel_hi:[0,1]
	v_cndmask_b32_e64 v18, 0, v18, s[0:1]
	v_cmp_nlt_f32_e64 s[0:1], s14, v58
	v_mul_f32_e32 v48, 0x3fb8aa3b, v47
	v_cndmask_b32_e64 v18, v53, v18, s[0:1]
	v_pk_mul_f32 v[44:45], v[50:51], v[60:61] op_sel_hi:[0,1]
	v_fma_f32 v55, v47, s15, -v48
	v_rndne_f32_e32 v56, v48
	v_fmac_f32_e32 v55, 0x32a5705f, v47
	v_sub_f32_e32 v48, v48, v56
	v_pk_fma_f32 v[30:31], v[30:31], v[18:19], v[44:45]
	v_mul_f32_e32 v19, 0x3fb8aa3b, v46
	v_add_f32_e32 v48, v48, v55
	v_fma_f32 v44, v46, s15, -v19
	v_rndne_f32_e32 v45, v19
	v_exp_f32_e32 v48, v48
	v_cvt_i32_f32_e32 v55, v56
	v_fmac_f32_e32 v44, 0x32a5705f, v46
	v_sub_f32_e32 v19, v19, v45
	v_add_f32_e32 v19, v19, v44
	v_exp_f32_e32 v44, v19
	v_cvt_i32_f32_e32 v45, v45
	v_ldexp_f32 v18, v48, v55
	v_cmp_ngt_f32_e64 s[0:1], s7, v47
	v_cndmask_b32_e64 v18, 0, v18, s[0:1]
	v_cmp_nlt_f32_e64 s[0:1], s14, v47
	v_cndmask_b32_e64 v19, v53, v18, s[0:1]
	v_ldexp_f32 v18, v44, v45
	v_cmp_ngt_f32_e64 s[0:1], s7, v46
	v_cndmask_b32_e64 v18, 0, v18, s[0:1]
	v_cmp_nlt_f32_e64 s[0:1], s14, v46
	s_waitcnt lgkmcnt(0)
	v_fmac_f32_e32 v70, v64, v30
	v_cndmask_b32_e64 v18, v53, v18, s[0:1]
	v_pk_mul_f32 v[44:45], v[50:51], v[62:63] op_sel_hi:[0,1]
	v_fmac_f32_e32 v70, v65, v31
	v_pk_fma_f32 v[32:33], v[32:33], v[18:19], v[44:45]
	s_ashr_i64 s[0:1], s[16:17], 30
	v_fmac_f32_e32 v70, v66, v32
	v_mov_b32_e32 v19, s1
	v_add_co_u32_e64 v18, s[0:1], s0, v51
	v_fmac_f32_e32 v70, v67, v33
	v_addc_co_u32_e64 v19, s[0:1], v54, v19, s[0:1]
	global_store_dword v[18:19], v70, off
	s_barrier
	s_and_saveexec_b64 s[0:1], vcc
	s_cbranch_execz .LBB4_10
; %bb.9:
	s_lshl_b64 s[2:3], s[8:9], 3
	v_mov_b32_e32 v19, s3
	v_add_co_u32_e32 v18, vcc, s2, v36
	v_addc_co_u32_e32 v19, vcc, v37, v19, vcc
	s_lshl_b64 s[2:3], s[10:11], 3
	global_load_dword v18, v[18:19], off
	v_mov_b32_e32 v19, s3
	v_add_co_u32_e32 v0, vcc, s2, v0
	v_addc_co_u32_e32 v1, vcc, v1, v19, vcc
	global_load_dword v0, v[0:1], off
	s_waitcnt vmcnt(1)
	ds_write_b32 v49, v18
	s_waitcnt vmcnt(0)
	ds_write_b32 v52, v0
.LBB4_10:
	s_or_b64 exec, exec, s[0:1]
	v_mov_b32_e32 v1, s19
	v_add_co_u32_e32 v0, vcc, s18, v28
	v_addc_co_u32_e32 v1, vcc, v29, v1, vcc
	s_waitcnt lgkmcnt(0)
	s_barrier
	global_load_dword v50, v[0:1], off
	s_mov_b32 s0, 0x41a00000
	s_waitcnt vmcnt(0)
	v_cmp_ge_f32_e32 vcc, s0, v50
	s_and_saveexec_b64 s[2:3], vcc
	s_cbranch_execz .LBB4_12
; %bb.11:
	v_mul_f32_e32 v0, 0x3fb8aa3b, v50
	s_mov_b32 s0, 0x3fb8aa3b
	v_rndne_f32_e32 v1, v0
	v_sub_f32_e32 v18, v0, v1
	v_fma_f32 v0, v50, s0, -v0
	v_fmac_f32_e32 v0, 0x32a5705f, v50
	v_add_f32_e32 v0, v18, v0
	v_exp_f32_e32 v0, v0
	v_cvt_i32_f32_e32 v1, v1
	s_mov_b32 s0, 0xc2ce8ed0
	v_cmp_ngt_f32_e32 vcc, s0, v50
	s_mov_b32 s0, 0x42b17218
	v_ldexp_f32 v0, v0, v1
	v_cndmask_b32_e32 v0, 0, v0, vcc
	v_mov_b32_e32 v1, 0x7f800000
	v_cmp_nlt_f32_e32 vcc, s0, v50
	v_cndmask_b32_e32 v50, v1, v0, vcc
	v_add_f32_e32 v18, 1.0, v50
	v_add_f32_e32 v0, -1.0, v18
	v_sub_f32_e32 v1, v0, v18
	v_add_f32_e32 v1, 1.0, v1
	v_sub_f32_e32 v0, v50, v0
	v_add_f32_e32 v19, v0, v1
	v_frexp_mant_f32_e32 v28, v18
	s_mov_b32 s0, 0x3f2aaaab
	v_cvt_f64_f32_e32 v[0:1], v18
	v_frexp_exp_i32_f64_e32 v0, v[0:1]
	v_cmp_gt_f32_e32 vcc, s0, v28
	v_subbrev_co_u32_e32 v44, vcc, 0, v0, vcc
	v_sub_u32_e32 v0, 0, v44
	v_ldexp_f32 v1, v18, v0
	v_add_f32_e32 v18, -1.0, v1
	v_add_f32_e32 v28, 1.0, v1
	v_ldexp_f32 v0, v19, v0
	v_add_f32_e32 v19, 1.0, v18
	v_add_f32_e32 v29, -1.0, v28
	v_sub_f32_e32 v19, v1, v19
	v_sub_f32_e32 v1, v1, v29
	v_add_f32_e32 v19, v0, v19
	v_add_f32_e32 v0, v0, v1
	;; [unrolled: 1-line block ×3, first 2 shown]
	v_rcp_f32_e32 v47, v45
	v_sub_f32_e32 v1, v28, v45
	v_add_f32_e32 v46, v0, v1
	v_add_f32_e32 v1, v18, v19
	v_mul_f32_e32 v49, v1, v47
	v_sub_f32_e32 v0, v18, v1
	v_mul_f32_e32 v18, v45, v49
	v_fma_f32 v28, v49, v45, -v18
	v_fmac_f32_e32 v28, v49, v46
	v_add_f32_e32 v48, v19, v0
	v_add_f32_e32 v0, v18, v28
	v_sub_f32_e32 v19, v1, v0
	v_pk_add_f32 v[36:37], v[0:1], v[18:19] neg_lo:[0,1] neg_hi:[0,1]
	v_mov_b32_e32 v29, v0
	v_pk_add_f32 v[0:1], v[36:37], v[28:29] neg_lo:[0,1] neg_hi:[0,1]
	v_add_f32_e32 v1, v48, v1
	v_add_f32_e32 v0, v0, v1
	;; [unrolled: 1-line block ×3, first 2 shown]
	v_mul_f32_e32 v48, v47, v1
	v_mul_f32_e32 v18, v45, v48
	v_fma_f32 v28, v48, v45, -v18
	v_fmac_f32_e32 v28, v48, v46
	v_sub_f32_e32 v19, v19, v1
	v_add_f32_e32 v45, v0, v19
	v_add_f32_e32 v0, v18, v28
	v_sub_f32_e32 v19, v1, v0
	v_pk_add_f32 v[36:37], v[0:1], v[18:19] neg_lo:[0,1] neg_hi:[0,1]
	v_mov_b32_e32 v29, v0
	v_pk_add_f32 v[0:1], v[36:37], v[28:29] neg_lo:[0,1] neg_hi:[0,1]
	v_add_f32_e32 v1, v45, v1
	v_add_f32_e32 v0, v0, v1
	;; [unrolled: 1-line block ×4, first 2 shown]
	v_sub_f32_e32 v1, v19, v49
	v_mul_f32_e32 v0, v47, v0
	v_sub_f32_e32 v1, v48, v1
	v_add_f32_e32 v0, v1, v0
	v_add_f32_e32 v28, v19, v0
	v_mul_f32_e32 v36, v28, v28
	v_mov_b32_e32 v18, 0x3ecc95a3
	v_fmac_f32_e32 v18, 0x3e9b6dac, v36
	v_mov_b32_e32 v1, 0x3f2aaada
	v_fmac_f32_e32 v1, v36, v18
	v_cvt_f32_i32_e32 v18, v44
	v_sub_f32_e32 v19, v28, v19
	v_sub_f32_e32 v0, v0, v19
	v_ldexp_f32 v37, v0, 1
	v_mul_f32_e32 v19, v28, v36
	v_mov_b32_e32 v0, 0x3f317218
	s_mov_b32 s0, 0x3f317218
	v_pk_mul_f32 v[0:1], v[18:19], v[0:1]
	v_ldexp_f32 v29, v28, 1
	v_fma_f32 v28, v18, s0, -v0
	v_fmac_f32_e32 v28, 0xb102e308, v18
	v_pk_add_f32 v[18:19], v[0:1], v[28:29]
	v_sub_f32_e32 v29, v19, v29
	v_sub_f32_e32 v29, v1, v29
	v_add_f32_e32 v37, v37, v29
	v_mov_b32_e32 v36, v0
	v_pk_add_f32 v[0:1], v[18:19], v[0:1] neg_lo:[0,1] neg_hi:[0,1]
	v_pk_add_f32 v[44:45], v[18:19], v[36:37]
	v_mov_b32_e32 v1, v45
	v_mov_b32_e32 v29, v18
	v_pk_add_f32 v[46:47], v[28:29], v[0:1] neg_lo:[0,1] neg_hi:[0,1]
	v_pk_add_f32 v[0:1], v[28:29], v[0:1]
	v_mov_b32_e32 v28, v1
	v_pk_add_f32 v[48:49], v[28:29], v[18:19] neg_lo:[0,1] neg_hi:[0,1]
	v_mov_b32_e32 v29, v48
	v_pk_add_f32 v[52:53], v[44:45], v[28:29] neg_lo:[0,1] neg_hi:[0,1]
	v_mov_b32_e32 v0, v45
	v_mov_b32_e32 v44, v19
	v_mov_b32_e32 v45, v48
	v_mov_b32_e32 v47, v1
	v_pk_add_f32 v[0:1], v[0:1], v[44:45] neg_lo:[0,1] neg_hi:[0,1]
	v_mov_b32_e32 v36, v37
	v_mov_b32_e32 v37, v18
	v_pk_add_f32 v[0:1], v[36:37], v[0:1] neg_lo:[0,1] neg_hi:[0,1]
	v_mov_b32_e32 v52, v46
	v_pk_add_f32 v[18:19], v[52:53], v[0:1]
	v_mov_b32_e32 v36, v19
	v_pk_add_f32 v[36:37], v[18:19], v[36:37]
	v_pk_add_f32 v[28:29], v[28:29], v[36:37]
	v_mov_b32_e32 v19, v28
	v_pk_add_f32 v[44:45], v[18:19], v[46:47] neg_lo:[0,1] neg_hi:[0,1]
	v_mov_b32_e32 v1, v36
	v_sub_f32_e32 v18, v18, v44
	v_pk_add_f32 v[0:1], v[0:1], v[44:45] neg_lo:[0,1] neg_hi:[0,1]
	v_sub_f32_e32 v18, v46, v18
	s_mov_b32 s1, 0x7f800000
	v_add_f32_e32 v0, v0, v18
	s_mov_b32 s0, 0x33800000
	v_add_f32_e32 v0, v0, v1
	v_cmp_eq_f32_e32 vcc, s1, v50
	v_cmp_gt_f32_e64 s[0:1], s0, v50
	v_add_f32_e32 v0, v28, v0
	s_or_b64 vcc, s[0:1], vcc
	v_cndmask_b32_e32 v50, v0, v50, vcc
.LBB4_12:
	s_or_b64 exec, exec, s[2:3]
	v_mov_b32_e32 v1, s21
	v_add_co_u32_e32 v0, vcc, s20, v38
	v_addc_co_u32_e32 v1, vcc, v39, v1, vcc
	global_load_dword v64, v[0:1], off
	v_pk_mul_f32 v[52:53], v[50:51], v[14:15] op_sel_hi:[0,1]
	v_pk_mul_f32 v[46:47], v[50:51], v[12:13] op_sel_hi:[0,1]
	s_mov_b32 s2, 0x3fb8aa3b
	v_mul_f32_e32 v12, 0x3fb8aa3b, v53
	v_pk_mul_f32 v[14:15], v[50:51], v[16:17] op_sel_hi:[0,1]
	v_mul_f32_e32 v13, 0x3fb8aa3b, v52
	v_fma_f32 v68, v53, s2, -v12
	v_rndne_f32_e32 v69, v12
	v_mul_f32_e32 v66, 0x3fb8aa3b, v15
	v_mul_f32_e32 v67, 0x3fb8aa3b, v14
	v_fma_f32 v70, v52, s2, -v13
	v_rndne_f32_e32 v71, v13
	v_fmac_f32_e32 v68, 0x32a5705f, v53
	v_sub_f32_e32 v12, v12, v69
	v_fma_f32 v72, v15, s2, -v66
	v_fma_f32 v73, v14, s2, -v67
	v_rndne_f32_e32 v74, v66
	v_add_f32_e32 v12, v12, v68
	v_rndne_f32_e32 v68, v67
	v_fmac_f32_e32 v70, 0x32a5705f, v52
	v_sub_f32_e32 v13, v13, v71
	v_fmac_f32_e32 v72, 0x32a5705f, v15
	v_fmac_f32_e32 v73, 0x32a5705f, v14
	v_sub_f32_e32 v66, v66, v74
	v_sub_f32_e32 v67, v67, v68
	v_cvt_i32_f32_e32 v69, v69
	v_add_f32_e32 v13, v13, v70
	v_exp_f32_e32 v12, v12
	v_cvt_i32_f32_e32 v71, v71
	v_add_f32_e32 v66, v66, v72
	v_add_f32_e32 v67, v67, v73
	v_exp_f32_e32 v13, v13
	v_cvt_i32_f32_e32 v74, v74
	v_cvt_i32_f32_e32 v68, v68
	v_exp_f32_e32 v66, v66
	v_exp_f32_e32 v67, v67
	s_mov_b32 s0, 0xc2ce8ed0
	v_ldexp_f32 v12, v12, v69
	v_cmp_ngt_f32_e32 vcc, s0, v53
	v_ldexp_f32 v13, v13, v71
	v_cndmask_b32_e32 v12, 0, v12, vcc
	v_cmp_ngt_f32_e32 vcc, s0, v52
	v_mov_b32_e32 v65, 0
	v_ldexp_f32 v66, v66, v74
	v_ldexp_f32 v67, v67, v68
	v_cndmask_b32_e32 v68, 0, v13, vcc
	v_cmp_ngt_f32_e32 vcc, s0, v15
	v_pk_mul_f32 v[48:49], v[50:51], v[10:11] op_sel_hi:[0,1]
	v_pk_mul_f32 v[44:45], v[50:51], v[6:7] op_sel_hi:[0,1]
	;; [unrolled: 1-line block ×5, first 2 shown]
	s_mov_b32 s1, 0x42b17218
	ds_read_b128 v[16:19], v65 offset:64
	ds_read_b128 v[8:11], v65 offset:80
	;; [unrolled: 1-line block ×4, first 2 shown]
	ds_read_b128 v[56:59], v65
	ds_read_b128 v[60:63], v65 offset:16
	v_cndmask_b32_e32 v66, 0, v66, vcc
	v_cmp_ngt_f32_e32 vcc, s0, v14
	s_add_u32 s3, s22, s12
	v_mov_b32_e32 v55, 0x7f800000
	v_cndmask_b32_e32 v67, 0, v67, vcc
	v_cmp_nlt_f32_e32 vcc, s1, v53
	s_mul_i32 s4, s6, s25
	s_addc_u32 s5, s23, s13
	v_cndmask_b32_e32 v13, v55, v12, vcc
	v_cmp_nlt_f32_e32 vcc, s1, v52
	v_cndmask_b32_e32 v12, v55, v68, vcc
	v_cmp_nlt_f32_e32 vcc, s1, v15
	s_add_u32 s3, s3, s4
	v_cndmask_b32_e32 v15, v55, v66, vcc
	v_cmp_nlt_f32_e32 vcc, s1, v14
	s_addc_u32 s6, s5, 0
	s_ashr_i64 s[4:5], s[16:17], 29
	v_cndmask_b32_e32 v14, v55, v67, vcc
	s_add_u32 s3, s3, s34
	s_waitcnt vmcnt(0)
	v_mul_f32_e32 v50, v50, v64
	s_waitcnt lgkmcnt(1)
	v_pk_mul_f32 v[52:53], v[50:51], v[56:57] op_sel_hi:[0,1]
	v_pk_fma_f32 v[12:13], v[40:41], v[12:13], v[52:53]
	v_mov_b32_e32 v41, s5
	v_add_co_u32_e32 v40, vcc, s4, v51
	v_pk_mul_f32 v[56:57], v[50:51], v[58:59] op_sel_hi:[0,1]
	v_addc_co_u32_e32 v41, vcc, v54, v41, vcc
	s_addc_u32 s4, s6, s33
	v_pk_fma_f32 v[14:15], v[42:43], v[14:15], v[56:57]
	v_mov_b32_e32 v42, s4
	v_add_co_u32_e32 v34, vcc, s3, v34
	v_addc_co_u32_e32 v35, vcc, v42, v35, vcc
	v_fma_f32 v42, v16, v12, 0
	v_mul_f32_e32 v16, 0x3fb8aa3b, v49
	v_fma_f32 v43, v49, s2, -v16
	v_rndne_f32_e32 v51, v16
	v_fmac_f32_e32 v42, v17, v13
	v_fmac_f32_e32 v43, 0x32a5705f, v49
	v_sub_f32_e32 v16, v16, v51
	v_fmac_f32_e32 v42, v18, v14
	v_mul_f32_e32 v17, 0x3fb8aa3b, v48
	v_add_f32_e32 v16, v16, v43
	v_fmac_f32_e32 v42, v19, v15
	v_fma_f32 v18, v48, s2, -v17
	v_rndne_f32_e32 v19, v17
	v_exp_f32_e32 v16, v16
	v_cvt_i32_f32_e32 v43, v51
	v_fmac_f32_e32 v18, 0x32a5705f, v48
	v_sub_f32_e32 v17, v17, v19
	v_add_f32_e32 v17, v17, v18
	v_exp_f32_e32 v18, v17
	v_cvt_i32_f32_e32 v19, v19
	v_ldexp_f32 v16, v16, v43
	v_cmp_ngt_f32_e32 vcc, s0, v49
	v_cndmask_b32_e32 v16, 0, v16, vcc
	v_cmp_nlt_f32_e32 vcc, s1, v49
	v_cndmask_b32_e32 v17, v55, v16, vcc
	v_ldexp_f32 v16, v18, v19
	v_mul_f32_e32 v18, 0x3fb8aa3b, v47
	v_fma_f32 v19, v47, s2, -v18
	v_rndne_f32_e32 v43, v18
	v_cmp_ngt_f32_e32 vcc, s0, v48
	v_fmac_f32_e32 v19, 0x32a5705f, v47
	v_sub_f32_e32 v18, v18, v43
	v_cndmask_b32_e32 v16, 0, v16, vcc
	v_add_f32_e32 v18, v18, v19
	v_cmp_nlt_f32_e32 vcc, s1, v48
	v_exp_f32_e32 v49, v18
	v_cndmask_b32_e32 v16, v55, v16, vcc
	s_waitcnt lgkmcnt(0)
	v_pk_mul_f32 v[18:19], v[50:51], v[60:61] op_sel_hi:[0,1]
	v_pk_fma_f32 v[16:17], v[24:25], v[16:17], v[18:19]
	v_mul_f32_e32 v19, 0x3fb8aa3b, v46
	v_fma_f32 v24, v46, s2, -v19
	v_rndne_f32_e32 v25, v19
	v_cvt_i32_f32_e32 v43, v43
	v_fmac_f32_e32 v24, 0x32a5705f, v46
	v_sub_f32_e32 v19, v19, v25
	v_add_f32_e32 v19, v19, v24
	v_exp_f32_e32 v19, v19
	v_cvt_i32_f32_e32 v24, v25
	v_ldexp_f32 v18, v49, v43
	v_cmp_ngt_f32_e32 vcc, s0, v47
	v_fmac_f32_e32 v42, v8, v16
	v_cndmask_b32_e32 v8, 0, v18, vcc
	v_cmp_nlt_f32_e32 vcc, s1, v47
	v_fmac_f32_e32 v42, v9, v17
	v_ldexp_f32 v18, v19, v24
	v_cndmask_b32_e32 v9, v55, v8, vcc
	v_cmp_ngt_f32_e32 vcc, s0, v46
	v_cndmask_b32_e32 v8, 0, v18, vcc
	v_cmp_nlt_f32_e32 vcc, s1, v46
	v_cndmask_b32_e32 v8, v55, v8, vcc
	v_pk_mul_f32 v[18:19], v[50:51], v[62:63] op_sel_hi:[0,1]
	v_mul_f32_e32 v24, 0x3fb8aa3b, v45
	v_fma_f32 v25, v45, s2, -v24
	v_rndne_f32_e32 v43, v24
	v_pk_fma_f32 v[18:19], v[20:21], v[8:9], v[18:19]
	v_fmac_f32_e32 v25, 0x32a5705f, v45
	v_sub_f32_e32 v24, v24, v43
	v_fmac_f32_e32 v42, v10, v18
	v_mul_f32_e32 v9, 0x3fb8aa3b, v44
	v_add_f32_e32 v24, v24, v25
	v_fmac_f32_e32 v42, v11, v19
	v_fma_f32 v10, v44, s2, -v9
	v_rndne_f32_e32 v11, v9
	v_exp_f32_e32 v24, v24
	v_cvt_i32_f32_e32 v25, v43
	v_fmac_f32_e32 v10, 0x32a5705f, v44
	v_sub_f32_e32 v9, v9, v11
	v_add_f32_e32 v9, v9, v10
	v_exp_f32_e32 v10, v9
	v_cvt_i32_f32_e32 v11, v11
	ds_read_b128 v[56:59], v65 offset:32
	ds_read_b128 v[64:67], v65 offset:48
	v_ldexp_f32 v8, v24, v25
	v_cmp_ngt_f32_e32 vcc, s0, v45
	v_cndmask_b32_e32 v8, 0, v8, vcc
	v_cmp_nlt_f32_e32 vcc, s1, v45
	v_cndmask_b32_e32 v9, v55, v8, vcc
	v_ldexp_f32 v8, v10, v11
	v_cmp_ngt_f32_e32 vcc, s0, v44
	v_cndmask_b32_e32 v8, 0, v8, vcc
	v_cmp_nlt_f32_e32 vcc, s1, v44
	v_cndmask_b32_e32 v8, v55, v8, vcc
	s_waitcnt lgkmcnt(1)
	v_pk_mul_f32 v[10:11], v[50:51], v[56:57] op_sel_hi:[0,1]
	v_mul_f32_e32 v20, 0x3fb8aa3b, v39
	v_pk_fma_f32 v[8:9], v[26:27], v[8:9], v[10:11]
	v_fma_f32 v21, v39, s2, -v20
	v_rndne_f32_e32 v24, v20
	v_fmac_f32_e32 v42, v4, v8
	v_fmac_f32_e32 v21, 0x32a5705f, v39
	v_sub_f32_e32 v20, v20, v24
	v_fmac_f32_e32 v42, v5, v9
	v_mul_f32_e32 v5, 0x3fb8aa3b, v38
	v_add_f32_e32 v20, v20, v21
	v_fma_f32 v10, v38, s2, -v5
	v_rndne_f32_e32 v11, v5
	v_exp_f32_e32 v20, v20
	v_cvt_i32_f32_e32 v21, v24
	v_fmac_f32_e32 v10, 0x32a5705f, v38
	v_sub_f32_e32 v5, v5, v11
	v_add_f32_e32 v5, v5, v10
	v_exp_f32_e32 v10, v5
	v_cvt_i32_f32_e32 v11, v11
	v_ldexp_f32 v4, v20, v21
	v_cmp_ngt_f32_e32 vcc, s0, v39
	v_cndmask_b32_e32 v4, 0, v4, vcc
	v_cmp_nlt_f32_e32 vcc, s1, v39
	v_cndmask_b32_e32 v5, v55, v4, vcc
	v_ldexp_f32 v4, v10, v11
	v_cmp_ngt_f32_e32 vcc, s0, v38
	v_cndmask_b32_e32 v4, 0, v4, vcc
	v_cmp_nlt_f32_e32 vcc, s1, v38
	v_cndmask_b32_e32 v4, v55, v4, vcc
	v_pk_mul_f32 v[10:11], v[50:51], v[58:59] op_sel_hi:[0,1]
	v_mul_f32_e32 v20, 0x3fb8aa3b, v37
	v_fma_f32 v21, v37, s2, -v20
	v_rndne_f32_e32 v24, v20
	v_pk_fma_f32 v[10:11], v[22:23], v[4:5], v[10:11]
	v_fmac_f32_e32 v21, 0x32a5705f, v37
	v_sub_f32_e32 v20, v20, v24
	v_fmac_f32_e32 v42, v6, v10
	v_mul_f32_e32 v5, 0x3fb8aa3b, v36
	v_add_f32_e32 v20, v20, v21
	v_fmac_f32_e32 v42, v7, v11
	v_fma_f32 v6, v36, s2, -v5
	v_rndne_f32_e32 v7, v5
	v_exp_f32_e32 v20, v20
	v_cvt_i32_f32_e32 v21, v24
	v_fmac_f32_e32 v6, 0x32a5705f, v36
	v_sub_f32_e32 v5, v5, v7
	v_add_f32_e32 v5, v5, v6
	v_exp_f32_e32 v6, v5
	v_cvt_i32_f32_e32 v7, v7
	v_ldexp_f32 v4, v20, v21
	v_cmp_ngt_f32_e32 vcc, s0, v37
	v_cndmask_b32_e32 v4, 0, v4, vcc
	v_cmp_nlt_f32_e32 vcc, s1, v37
	v_cndmask_b32_e32 v5, v55, v4, vcc
	v_ldexp_f32 v4, v6, v7
	v_cmp_ngt_f32_e32 vcc, s0, v36
	v_cndmask_b32_e32 v4, 0, v4, vcc
	v_cmp_nlt_f32_e32 vcc, s1, v36
	v_cndmask_b32_e32 v4, v55, v4, vcc
	s_waitcnt lgkmcnt(0)
	v_pk_mul_f32 v[6:7], v[50:51], v[64:65] op_sel_hi:[0,1]
	v_mul_f32_e32 v20, 0x3fb8aa3b, v29
	v_pk_fma_f32 v[4:5], v[30:31], v[4:5], v[6:7]
	v_fma_f32 v21, v29, s2, -v20
	v_rndne_f32_e32 v22, v20
	v_fmac_f32_e32 v42, v0, v4
	v_fmac_f32_e32 v21, 0x32a5705f, v29
	v_sub_f32_e32 v20, v20, v22
	v_fmac_f32_e32 v42, v1, v5
	v_mul_f32_e32 v1, 0x3fb8aa3b, v28
	v_add_f32_e32 v20, v20, v21
	v_fma_f32 v6, v28, s2, -v1
	v_rndne_f32_e32 v7, v1
	v_exp_f32_e32 v20, v20
	v_cvt_i32_f32_e32 v21, v22
	v_fmac_f32_e32 v6, 0x32a5705f, v28
	v_sub_f32_e32 v1, v1, v7
	v_add_f32_e32 v1, v1, v6
	v_exp_f32_e32 v6, v1
	v_cvt_i32_f32_e32 v7, v7
	v_ldexp_f32 v0, v20, v21
	v_cmp_ngt_f32_e32 vcc, s0, v29
	v_cndmask_b32_e32 v0, 0, v0, vcc
	v_cmp_nlt_f32_e32 vcc, s1, v29
	v_cndmask_b32_e32 v1, v55, v0, vcc
	v_ldexp_f32 v0, v6, v7
	v_cmp_ngt_f32_e32 vcc, s0, v28
	v_cndmask_b32_e32 v0, 0, v0, vcc
	v_cmp_nlt_f32_e32 vcc, s1, v28
	v_cndmask_b32_e32 v0, v55, v0, vcc
	v_pk_mul_f32 v[6:7], v[50:51], v[66:67] op_sel_hi:[0,1]
	v_pk_fma_f32 v[6:7], v[32:33], v[0:1], v[6:7]
	v_fmac_f32_e32 v42, v2, v6
	v_fmac_f32_e32 v42, v3, v7
	global_store_dword v[40:41], v42, off
	s_barrier
	global_store_dwordx4 v[34:35], v[12:15], off
	global_store_dwordx4 v[34:35], v[16:19], off offset:16
	global_store_dwordx4 v[34:35], v[8:11], off offset:32
	;; [unrolled: 1-line block ×3, first 2 shown]
	s_endpgm
	.section	.rodata,"a",@progbits
	.p2align	6, 0x0
	.amdhsa_kernel _Z12ssm_scan_f32ILm128ELm16ELm3EEvPKfS1_S1_S1_S1_S1_PKiPfiiiiiiiiiiilll
		.amdhsa_group_segment_fixed_size 128
		.amdhsa_private_segment_fixed_size 0
		.amdhsa_kernarg_size 136
		.amdhsa_user_sgpr_count 6
		.amdhsa_user_sgpr_private_segment_buffer 1
		.amdhsa_user_sgpr_dispatch_ptr 0
		.amdhsa_user_sgpr_queue_ptr 0
		.amdhsa_user_sgpr_kernarg_segment_ptr 1
		.amdhsa_user_sgpr_dispatch_id 0
		.amdhsa_user_sgpr_flat_scratch_init 0
		.amdhsa_user_sgpr_kernarg_preload_length 0
		.amdhsa_user_sgpr_kernarg_preload_offset 0
		.amdhsa_user_sgpr_private_segment_size 0
		.amdhsa_uses_dynamic_stack 0
		.amdhsa_system_sgpr_private_segment_wavefront_offset 0
		.amdhsa_system_sgpr_workgroup_id_x 1
		.amdhsa_system_sgpr_workgroup_id_y 1
		.amdhsa_system_sgpr_workgroup_id_z 0
		.amdhsa_system_sgpr_workgroup_info 0
		.amdhsa_system_vgpr_workitem_id 0
		.amdhsa_next_free_vgpr 79
		.amdhsa_next_free_sgpr 40
		.amdhsa_accum_offset 80
		.amdhsa_reserve_vcc 1
		.amdhsa_reserve_flat_scratch 0
		.amdhsa_float_round_mode_32 0
		.amdhsa_float_round_mode_16_64 0
		.amdhsa_float_denorm_mode_32 3
		.amdhsa_float_denorm_mode_16_64 3
		.amdhsa_dx10_clamp 1
		.amdhsa_ieee_mode 1
		.amdhsa_fp16_overflow 0
		.amdhsa_tg_split 0
		.amdhsa_exception_fp_ieee_invalid_op 0
		.amdhsa_exception_fp_denorm_src 0
		.amdhsa_exception_fp_ieee_div_zero 0
		.amdhsa_exception_fp_ieee_overflow 0
		.amdhsa_exception_fp_ieee_underflow 0
		.amdhsa_exception_fp_ieee_inexact 0
		.amdhsa_exception_int_div_zero 0
	.end_amdhsa_kernel
	.section	.text._Z12ssm_scan_f32ILm128ELm16ELm3EEvPKfS1_S1_S1_S1_S1_PKiPfiiiiiiiiiiilll,"axG",@progbits,_Z12ssm_scan_f32ILm128ELm16ELm3EEvPKfS1_S1_S1_S1_S1_PKiPfiiiiiiiiiiilll,comdat
.Lfunc_end4:
	.size	_Z12ssm_scan_f32ILm128ELm16ELm3EEvPKfS1_S1_S1_S1_S1_PKiPfiiiiiiiiiiilll, .Lfunc_end4-_Z12ssm_scan_f32ILm128ELm16ELm3EEvPKfS1_S1_S1_S1_S1_PKiPfiiiiiiiiiiilll
                                        ; -- End function
	.section	.AMDGPU.csdata,"",@progbits
; Kernel info:
; codeLenInByte = 8384
; NumSgprs: 44
; NumVgprs: 79
; NumAgprs: 0
; TotalNumVgprs: 79
; ScratchSize: 0
; MemoryBound: 0
; FloatMode: 240
; IeeeMode: 1
; LDSByteSize: 128 bytes/workgroup (compile time only)
; SGPRBlocks: 5
; VGPRBlocks: 9
; NumSGPRsForWavesPerEU: 44
; NumVGPRsForWavesPerEU: 79
; AccumOffset: 80
; Occupancy: 6
; WaveLimiterHint : 1
; COMPUTE_PGM_RSRC2:SCRATCH_EN: 0
; COMPUTE_PGM_RSRC2:USER_SGPR: 6
; COMPUTE_PGM_RSRC2:TRAP_HANDLER: 0
; COMPUTE_PGM_RSRC2:TGID_X_EN: 1
; COMPUTE_PGM_RSRC2:TGID_Y_EN: 1
; COMPUTE_PGM_RSRC2:TGID_Z_EN: 0
; COMPUTE_PGM_RSRC2:TIDIG_COMP_CNT: 0
; COMPUTE_PGM_RSRC3_GFX90A:ACCUM_OFFSET: 19
; COMPUTE_PGM_RSRC3_GFX90A:TG_SPLIT: 0
	.section	.text._Z12ssm_scan_f32ILm128ELm16ELm4EEvPKfS1_S1_S1_S1_S1_PKiPfiiiiiiiiiiilll,"axG",@progbits,_Z12ssm_scan_f32ILm128ELm16ELm4EEvPKfS1_S1_S1_S1_S1_PKiPfiiiiiiiiiiilll,comdat
	.protected	_Z12ssm_scan_f32ILm128ELm16ELm4EEvPKfS1_S1_S1_S1_S1_PKiPfiiiiiiiiiiilll ; -- Begin function _Z12ssm_scan_f32ILm128ELm16ELm4EEvPKfS1_S1_S1_S1_S1_PKiPfiiiiiiiiiiilll
	.globl	_Z12ssm_scan_f32ILm128ELm16ELm4EEvPKfS1_S1_S1_S1_S1_PKiPfiiiiiiiiiiilll
	.p2align	8
	.type	_Z12ssm_scan_f32ILm128ELm16ELm4EEvPKfS1_S1_S1_S1_S1_PKiPfiiiiiiiiiiilll,@function
_Z12ssm_scan_f32ILm128ELm16ELm4EEvPKfS1_S1_S1_S1_S1_PKiPfiiiiiiiiiiilll: ; @_Z12ssm_scan_f32ILm128ELm16ELm4EEvPKfS1_S1_S1_S1_S1_PKiPfiiiiiiiiiiilll
; %bb.0:
	s_load_dwordx16 s[8:23], s[4:5], 0x0
	s_load_dwordx8 s[24:31], s[4:5], 0x40
	s_mov_b32 s2, s7
	s_mov_b32 s7, 0
	s_lshl_b64 s[0:1], s[6:7], 2
	s_waitcnt lgkmcnt(0)
	s_add_u32 s0, s20, s0
	s_addc_u32 s1, s21, s1
	s_load_dword s0, s[0:1], 0x0
	v_mov_b32_e32 v3, 0
	s_load_dwordx4 s[36:39], s[4:5], 0x60
	v_lshlrev_b32_e32 v57, 2, v0
	v_add_u32_e32 v59, 64, v57
	s_waitcnt lgkmcnt(0)
	s_mul_i32 s0, s0, s25
	s_ashr_i32 s1, s0, 31
	s_add_u32 s0, s8, s0
	s_addc_u32 s1, s9, s1
	s_lshl_b32 s3, s2, 7
	s_ashr_i32 s8, s24, 31
	s_mul_i32 s8, s3, s8
	s_mul_hi_u32 s9, s3, s24
	s_add_i32 s8, s9, s8
	s_lshr_b32 s9, s2, 25
	s_mul_i32 s20, s9, s24
	s_add_i32 s33, s8, s20
	s_mul_i32 s34, s3, s24
	s_add_u32 s0, s0, s34
	s_addc_u32 s1, s1, s33
	s_ashr_i32 s8, s30, 31
	s_mul_i32 s8, s3, s8
	s_mul_hi_u32 s20, s3, s30
	s_add_i32 s8, s20, s8
	s_mul_i32 s9, s9, s30
	s_add_i32 s8, s8, s9
	s_mul_i32 s3, s3, s30
	s_add_u32 s3, s14, s3
	s_addc_u32 s8, s15, s8
	s_ashr_i32 s14, s30, 2
	v_mul_lo_u32 v2, s14, v0
	s_ashr_i32 s9, s24, 2
	v_lshlrev_b64 v[4:5], 2, v[2:3]
	v_mov_b32_e32 v1, s8
	v_add_co_u32_e32 v36, vcc, s3, v4
	v_mul_lo_u32 v2, s9, v0
	v_addc_co_u32_e32 v37, vcc, v1, v5, vcc
	v_lshlrev_b64 v[34:35], 2, v[2:3]
	v_mov_b32_e32 v1, s1
	v_add_co_u32_e32 v38, vcc, s0, v34
	v_addc_co_u32_e32 v39, vcc, v1, v35, vcc
	global_load_dwordx4 v[2:5], v[36:37], off offset:48
	global_load_dwordx4 v[6:9], v[36:37], off offset:32
	;; [unrolled: 1-line block ×3, first 2 shown]
	global_load_dwordx4 v[14:17], v[36:37], off
	global_load_dwordx4 v[18:21], v[38:39], off offset:48
	global_load_dwordx4 v[22:25], v[38:39], off offset:32
	;; [unrolled: 1-line block ×3, first 2 shown]
	global_load_dwordx4 v[30:33], v[38:39], off
	s_mul_i32 s0, s6, s36
	s_add_u32 s0, s16, s0
	s_mov_b32 s3, s7
	s_mul_i32 s1, s6, s38
	s_addc_u32 s7, s17, 0
	s_add_u32 s8, s18, s1
	v_cmp_gt_u32_e32 vcc, 16, v0
	v_mov_b32_e32 v1, s7
	v_add_co_u32_e64 v0, s[0:1], s0, v57
	s_addc_u32 s9, s19, 0
	v_addc_co_u32_e64 v1, s[0:1], 0, v1, s[0:1]
	v_mov_b32_e32 v37, s9
	v_add_co_u32_e64 v36, s[0:1], s8, v57
	v_addc_co_u32_e64 v37, s[0:1], 0, v37, s[0:1]
	s_and_saveexec_b64 s[0:1], vcc
	s_cbranch_execz .LBB5_2
; %bb.1:
	global_load_dword v38, v[0:1], off
	global_load_dword v39, v[36:37], off
	s_waitcnt vmcnt(1)
	ds_write_b32 v57, v38
	s_waitcnt vmcnt(0)
	ds_write_b32 v59, v39
.LBB5_2:
	s_or_b64 exec, exec, s[0:1]
	s_lshl_b64 s[16:17], s[2:3], 9
	s_mul_i32 s0, s6, s29
	s_add_u32 s0, s12, s0
	s_addc_u32 s1, s13, 0
	s_add_u32 s0, s0, s16
	s_addc_u32 s1, s1, s17
	s_waitcnt lgkmcnt(0)
	s_barrier
	global_load_dword v44, v57, s[0:1]
	v_mov_b32_e32 v38, s1
	v_add_co_u32_e64 v48, s[0:1], s0, v57
	v_addc_co_u32_e64 v49, s[0:1], 0, v38, s[0:1]
	s_mov_b32 s0, 0x41a00000
	s_waitcnt vmcnt(0)
	v_cmp_ge_f32_e64 s[0:1], s0, v44
	s_and_saveexec_b64 s[8:9], s[0:1]
	s_cbranch_execz .LBB5_4
; %bb.3:
	v_mul_f32_e32 v38, 0x3fb8aa3b, v44
	s_mov_b32 s0, 0x3fb8aa3b
	v_rndne_f32_e32 v39, v38
	v_sub_f32_e32 v40, v38, v39
	v_fma_f32 v38, v44, s0, -v38
	v_fmac_f32_e32 v38, 0x32a5705f, v44
	v_add_f32_e32 v38, v40, v38
	v_exp_f32_e32 v38, v38
	v_cvt_i32_f32_e32 v39, v39
	s_mov_b32 s0, 0xc2ce8ed0
	v_cmp_ngt_f32_e64 s[0:1], s0, v44
	s_mov_b32 s2, 0x7f800000
	v_ldexp_f32 v38, v38, v39
	v_cndmask_b32_e64 v38, 0, v38, s[0:1]
	s_mov_b32 s0, 0x42b17218
	v_mov_b32_e32 v39, 0x7f800000
	v_cmp_nlt_f32_e64 s[0:1], s0, v44
	v_cndmask_b32_e64 v56, v39, v38, s[0:1]
	v_add_f32_e32 v40, 1.0, v56
	v_add_f32_e32 v38, -1.0, v40
	v_sub_f32_e32 v39, v38, v40
	v_add_f32_e32 v39, 1.0, v39
	v_sub_f32_e32 v38, v56, v38
	v_add_f32_e32 v41, v38, v39
	v_frexp_mant_f32_e32 v42, v40
	s_mov_b32 s0, 0x3f2aaaab
	v_cvt_f64_f32_e32 v[38:39], v40
	v_frexp_exp_i32_f64_e32 v38, v[38:39]
	v_cmp_gt_f32_e64 s[0:1], s0, v42
	v_subbrev_co_u32_e64 v46, s[0:1], 0, v38, s[0:1]
	v_sub_u32_e32 v38, 0, v46
	v_ldexp_f32 v39, v40, v38
	v_add_f32_e32 v40, -1.0, v39
	v_add_f32_e32 v42, 1.0, v39
	v_ldexp_f32 v38, v41, v38
	v_add_f32_e32 v41, 1.0, v40
	v_add_f32_e32 v43, -1.0, v42
	v_sub_f32_e32 v41, v39, v41
	v_sub_f32_e32 v39, v39, v43
	v_add_f32_e32 v41, v38, v41
	v_add_f32_e32 v38, v38, v39
	;; [unrolled: 1-line block ×3, first 2 shown]
	v_rcp_f32_e32 v51, v47
	v_sub_f32_e32 v39, v42, v47
	v_add_f32_e32 v50, v38, v39
	v_add_f32_e32 v39, v40, v41
	v_mul_f32_e32 v53, v39, v51
	v_sub_f32_e32 v38, v40, v39
	v_mul_f32_e32 v40, v47, v53
	v_fma_f32 v42, v53, v47, -v40
	v_fmac_f32_e32 v42, v53, v50
	v_add_f32_e32 v52, v41, v38
	v_add_f32_e32 v38, v40, v42
	v_sub_f32_e32 v41, v39, v38
	v_pk_add_f32 v[44:45], v[38:39], v[40:41] neg_lo:[0,1] neg_hi:[0,1]
	v_mov_b32_e32 v43, v38
	v_pk_add_f32 v[38:39], v[44:45], v[42:43] neg_lo:[0,1] neg_hi:[0,1]
	v_add_f32_e32 v39, v52, v39
	v_add_f32_e32 v38, v38, v39
	v_add_f32_e32 v39, v41, v38
	v_mul_f32_e32 v52, v51, v39
	v_mul_f32_e32 v40, v47, v52
	v_fma_f32 v42, v52, v47, -v40
	v_fmac_f32_e32 v42, v52, v50
	v_sub_f32_e32 v41, v41, v39
	v_add_f32_e32 v47, v38, v41
	v_add_f32_e32 v38, v40, v42
	v_sub_f32_e32 v41, v39, v38
	v_pk_add_f32 v[44:45], v[38:39], v[40:41] neg_lo:[0,1] neg_hi:[0,1]
	v_mov_b32_e32 v43, v38
	v_pk_add_f32 v[38:39], v[44:45], v[42:43] neg_lo:[0,1] neg_hi:[0,1]
	v_add_f32_e32 v39, v47, v39
	v_add_f32_e32 v38, v38, v39
	;; [unrolled: 1-line block ×4, first 2 shown]
	v_sub_f32_e32 v39, v41, v53
	v_mul_f32_e32 v38, v51, v38
	v_sub_f32_e32 v39, v52, v39
	v_add_f32_e32 v38, v39, v38
	v_add_f32_e32 v42, v41, v38
	v_mul_f32_e32 v44, v42, v42
	v_mov_b32_e32 v40, 0x3ecc95a3
	v_fmac_f32_e32 v40, 0x3e9b6dac, v44
	v_mov_b32_e32 v39, 0x3f2aaada
	v_fmac_f32_e32 v39, v44, v40
	v_cvt_f32_i32_e32 v40, v46
	v_sub_f32_e32 v41, v42, v41
	v_sub_f32_e32 v38, v38, v41
	v_ldexp_f32 v45, v38, 1
	v_mul_f32_e32 v41, v42, v44
	v_mov_b32_e32 v38, 0x3f317218
	s_mov_b32 s0, 0x3f317218
	v_pk_mul_f32 v[38:39], v[40:41], v[38:39]
	v_ldexp_f32 v43, v42, 1
	v_fma_f32 v42, v40, s0, -v38
	v_fmac_f32_e32 v42, 0xb102e308, v40
	v_pk_add_f32 v[40:41], v[38:39], v[42:43]
	v_sub_f32_e32 v43, v41, v43
	v_sub_f32_e32 v43, v39, v43
	v_add_f32_e32 v45, v45, v43
	v_mov_b32_e32 v44, v38
	v_pk_add_f32 v[38:39], v[40:41], v[38:39] neg_lo:[0,1] neg_hi:[0,1]
	v_pk_add_f32 v[46:47], v[40:41], v[44:45]
	v_mov_b32_e32 v39, v47
	v_mov_b32_e32 v43, v40
	v_pk_add_f32 v[50:51], v[42:43], v[38:39] neg_lo:[0,1] neg_hi:[0,1]
	v_pk_add_f32 v[38:39], v[42:43], v[38:39]
	v_mov_b32_e32 v42, v39
	v_pk_add_f32 v[52:53], v[42:43], v[40:41] neg_lo:[0,1] neg_hi:[0,1]
	v_mov_b32_e32 v43, v52
	v_pk_add_f32 v[54:55], v[46:47], v[42:43] neg_lo:[0,1] neg_hi:[0,1]
	v_mov_b32_e32 v38, v47
	v_mov_b32_e32 v46, v41
	;; [unrolled: 1-line block ×4, first 2 shown]
	v_pk_add_f32 v[38:39], v[38:39], v[46:47] neg_lo:[0,1] neg_hi:[0,1]
	v_mov_b32_e32 v44, v45
	v_mov_b32_e32 v45, v40
	v_pk_add_f32 v[38:39], v[44:45], v[38:39] neg_lo:[0,1] neg_hi:[0,1]
	v_mov_b32_e32 v54, v50
	v_pk_add_f32 v[40:41], v[54:55], v[38:39]
	v_mov_b32_e32 v44, v41
	v_pk_add_f32 v[44:45], v[40:41], v[44:45]
	v_pk_add_f32 v[42:43], v[42:43], v[44:45]
	v_mov_b32_e32 v41, v42
	v_pk_add_f32 v[46:47], v[40:41], v[50:51] neg_lo:[0,1] neg_hi:[0,1]
	v_mov_b32_e32 v39, v44
	v_sub_f32_e32 v40, v40, v46
	v_pk_add_f32 v[38:39], v[38:39], v[46:47] neg_lo:[0,1] neg_hi:[0,1]
	v_sub_f32_e32 v40, v50, v40
	v_add_f32_e32 v38, v38, v40
	v_cmp_eq_f32_e64 s[0:1], s2, v56
	s_mov_b32 s2, 0x33800000
	v_add_f32_e32 v38, v38, v39
	v_cmp_gt_f32_e64 s[2:3], s2, v56
	v_add_f32_e32 v38, v42, v38
	s_or_b64 s[0:1], s[2:3], s[0:1]
	v_cndmask_b32_e64 v44, v38, v56, s[0:1]
.LBB5_4:
	s_or_b64 exec, exec, s[8:9]
	s_load_dwordx4 s[12:15], s[4:5], 0x70
	s_mul_i32 s4, s6, s27
	s_mov_b32 s19, 0x3fb8aa3b
	s_mov_b32 s7, 0xc2ce8ed0
	v_mov_b32_e32 v56, 0
	s_waitcnt lgkmcnt(0)
	s_mul_i32 s1, s6, s15
	s_mul_hi_u32 s2, s6, s14
	s_mul_i32 s0, s6, s14
	s_add_i32 s1, s2, s1
	s_lshl_b64 s[0:1], s[0:1], 4
	s_add_u32 s2, s22, s0
	s_addc_u32 s3, s23, s1
	s_ashr_i32 s8, s31, 2
	s_add_u32 s0, s10, s4
	s_addc_u32 s1, s11, 0
	s_add_u32 s4, s0, s16
	s_addc_u32 s5, s1, s17
	global_load_dword v45, v57, s[4:5]
	s_mov_b32 s18, 0x42b17218
	v_mov_b32_e32 v58, 0x7f800000
	ds_read_b128 v[40:43], v56
	ds_read_b128 v[52:55], v56 offset:16
	s_add_u32 s2, s2, s16
	s_addc_u32 s3, s3, s17
	s_ashr_i32 s10, s37, 2
	s_ashr_i32 s9, s8, 31
	;; [unrolled: 1-line block ×3, first 2 shown]
	s_waitcnt vmcnt(0)
	v_pk_mul_f32 v[38:39], v[44:45], v[14:15] op_sel_hi:[0,1]
	v_mul_f32_e32 v50, 0x3fb8aa3b, v39
	v_pk_mul_f32 v[46:47], v[44:45], v[16:17] op_sel_hi:[0,1]
	v_mul_f32_e32 v51, 0x3fb8aa3b, v38
	v_fma_f32 v62, v39, s19, -v50
	v_rndne_f32_e32 v63, v50
	v_mul_f32_e32 v60, 0x3fb8aa3b, v47
	v_fma_f32 v64, v38, s19, -v51
	v_rndne_f32_e32 v65, v51
	v_fmac_f32_e32 v62, 0x32a5705f, v39
	v_sub_f32_e32 v50, v50, v63
	v_mul_f32_e32 v61, 0x3fb8aa3b, v46
	v_fma_f32 v66, v47, s19, -v60
	v_rndne_f32_e32 v67, v60
	v_fmac_f32_e32 v64, 0x32a5705f, v38
	v_sub_f32_e32 v51, v51, v65
	v_add_f32_e32 v50, v50, v62
	v_fma_f32 v70, v46, s19, -v61
	v_rndne_f32_e32 v71, v61
	v_fmac_f32_e32 v66, 0x32a5705f, v47
	v_sub_f32_e32 v60, v60, v67
	v_cvt_i32_f32_e32 v63, v63
	v_add_f32_e32 v51, v51, v64
	v_exp_f32_e32 v50, v50
	v_fmac_f32_e32 v70, 0x32a5705f, v46
	v_sub_f32_e32 v61, v61, v71
	v_cvt_i32_f32_e32 v65, v65
	v_add_f32_e32 v60, v60, v66
	v_exp_f32_e32 v51, v51
	v_cvt_i32_f32_e32 v67, v67
	v_add_f32_e32 v61, v61, v70
	v_exp_f32_e32 v60, v60
	v_cvt_i32_f32_e32 v71, v71
	v_exp_f32_e32 v61, v61
	v_ldexp_f32 v50, v50, v63
	v_cmp_ngt_f32_e64 s[0:1], s7, v39
	v_ldexp_f32 v51, v51, v65
	v_cndmask_b32_e64 v50, 0, v50, s[0:1]
	v_cmp_ngt_f32_e64 s[0:1], s7, v38
	v_ldexp_f32 v60, v60, v67
	v_cndmask_b32_e64 v51, 0, v51, s[0:1]
	;; [unrolled: 3-line block ×3, first 2 shown]
	v_cmp_ngt_f32_e64 s[0:1], s7, v46
	v_cndmask_b32_e64 v64, 0, v61, s[0:1]
	v_cmp_nlt_f32_e64 s[0:1], s18, v39
	v_cndmask_b32_e64 v61, v58, v50, s[0:1]
	v_cmp_nlt_f32_e64 s[0:1], s18, v38
	;; [unrolled: 2-line block ×4, first 2 shown]
	v_mul_f32_e32 v46, v44, v45
	v_pk_mul_f32 v[68:69], v[44:45], v[10:11] op_sel_hi:[0,1]
	v_cndmask_b32_e64 v62, v58, v64, s[0:1]
	s_waitcnt lgkmcnt(1)
	v_pk_mul_f32 v[40:41], v[46:47], v[40:41] op_sel_hi:[0,1]
	v_pk_mul_f32 v[42:43], v[46:47], v[42:43] op_sel_hi:[0,1]
	v_pk_fma_f32 v[30:31], v[30:31], v[60:61], v[40:41]
	v_pk_fma_f32 v[40:41], v[32:33], v[62:63], v[42:43]
	v_mul_f32_e32 v32, 0x3fb8aa3b, v69
	v_fma_f32 v33, v69, s19, -v32
	v_rndne_f32_e32 v42, v32
	v_fmac_f32_e32 v33, 0x32a5705f, v69
	v_sub_f32_e32 v32, v32, v42
	v_add_f32_e32 v32, v32, v33
	v_exp_f32_e32 v32, v32
	v_cvt_i32_f32_e32 v33, v42
	v_mov_b32_e32 v38, s5
	v_add_co_u32_e64 v50, s[0:1], s4, v57
	v_ldexp_f32 v32, v32, v33
	v_mul_f32_e32 v33, 0x3fb8aa3b, v68
	v_fma_f32 v42, v68, s19, -v33
	v_rndne_f32_e32 v43, v33
	v_fmac_f32_e32 v42, 0x32a5705f, v68
	v_sub_f32_e32 v33, v33, v43
	v_addc_co_u32_e64 v51, s[0:1], 0, v38, s[0:1]
	v_add_f32_e32 v33, v33, v42
	v_mov_b32_e32 v39, s3
	v_add_co_u32_e64 v38, s[0:1], s2, v57
	v_exp_f32_e32 v42, v33
	v_cvt_i32_f32_e32 v43, v43
	v_addc_co_u32_e64 v39, s[0:1], 0, v39, s[0:1]
	ds_read_b128 v[60:63], v56 offset:64
	ds_read_b128 v[64:67], v56 offset:80
	v_cmp_ngt_f32_e64 s[0:1], s7, v69
	v_cndmask_b32_e64 v32, 0, v32, s[0:1]
	v_cmp_nlt_f32_e64 s[0:1], s18, v69
	v_cndmask_b32_e64 v33, v58, v32, s[0:1]
	v_ldexp_f32 v32, v42, v43
	v_pk_mul_f32 v[42:43], v[44:45], v[12:13] op_sel_hi:[0,1]
	v_mul_f32_e32 v45, 0x3fb8aa3b, v43
	s_waitcnt lgkmcnt(1)
	v_fma_f32 v70, v60, v30, 0
	v_fma_f32 v47, v43, s19, -v45
	v_rndne_f32_e32 v60, v45
	v_fmac_f32_e32 v47, 0x32a5705f, v43
	v_sub_f32_e32 v45, v45, v60
	v_add_f32_e32 v45, v45, v47
	v_cvt_i32_f32_e32 v47, v60
	v_cmp_ngt_f32_e64 s[0:1], s7, v68
	v_cndmask_b32_e64 v32, 0, v32, s[0:1]
	v_cmp_nlt_f32_e64 s[0:1], s18, v68
	v_cndmask_b32_e64 v32, v58, v32, s[0:1]
	v_pk_mul_f32 v[52:53], v[46:47], v[52:53] op_sel_hi:[0,1]
	v_pk_fma_f32 v[52:53], v[26:27], v[32:33], v[52:53]
	v_mul_f32_e32 v27, 0x3fb8aa3b, v42
	v_fma_f32 v32, v42, s19, -v27
	v_rndne_f32_e32 v33, v27
	v_exp_f32_e32 v45, v45
	v_fmac_f32_e32 v32, 0x32a5705f, v42
	v_sub_f32_e32 v27, v27, v33
	v_add_f32_e32 v27, v27, v32
	v_exp_f32_e32 v32, v27
	v_cvt_i32_f32_e32 v33, v33
	v_ldexp_f32 v26, v45, v47
	v_cmp_ngt_f32_e64 s[0:1], s7, v43
	v_cndmask_b32_e64 v26, 0, v26, s[0:1]
	v_cmp_nlt_f32_e64 s[0:1], s18, v43
	v_cndmask_b32_e64 v27, v58, v26, s[0:1]
	v_ldexp_f32 v26, v32, v33
	v_cmp_ngt_f32_e64 s[0:1], s7, v42
	v_cndmask_b32_e64 v26, 0, v26, s[0:1]
	v_cmp_nlt_f32_e64 s[0:1], s18, v42
	v_cndmask_b32_e64 v26, v58, v26, s[0:1]
	v_pk_mul_f32 v[32:33], v[46:47], v[54:55] op_sel_hi:[0,1]
	v_pk_mul_f32 v[42:43], v[44:45], v[6:7] op_sel_hi:[0,1]
	v_pk_fma_f32 v[32:33], v[28:29], v[26:27], v[32:33]
	v_mul_f32_e32 v26, 0x3fb8aa3b, v43
	v_fma_f32 v27, v43, s19, -v26
	v_rndne_f32_e32 v45, v26
	v_fmac_f32_e32 v27, 0x32a5705f, v43
	v_sub_f32_e32 v26, v26, v45
	v_add_f32_e32 v47, v26, v27
	v_exp_f32_e32 v47, v47
	v_cvt_i32_f32_e32 v45, v45
	v_fmac_f32_e32 v70, v61, v31
	v_cmp_ngt_f32_e64 s[0:1], s7, v43
	v_fmac_f32_e32 v70, v62, v40
	v_ldexp_f32 v45, v47, v45
	v_mul_f32_e32 v47, 0x3fb8aa3b, v42
	v_fma_f32 v54, v42, s19, -v47
	v_rndne_f32_e32 v55, v47
	v_fmac_f32_e32 v54, 0x32a5705f, v42
	v_sub_f32_e32 v47, v47, v55
	v_add_f32_e32 v47, v47, v54
	v_exp_f32_e32 v47, v47
	v_cvt_i32_f32_e32 v54, v55
	v_cndmask_b32_e64 v45, 0, v45, s[0:1]
	v_cmp_nlt_f32_e64 s[0:1], s18, v43
	v_fmac_f32_e32 v70, v63, v41
	v_cndmask_b32_e64 v43, v58, v45, s[0:1]
	v_ldexp_f32 v45, v47, v54
	v_cmp_ngt_f32_e64 s[0:1], s7, v42
	s_waitcnt lgkmcnt(0)
	v_fmac_f32_e32 v70, v64, v52
	v_cndmask_b32_e64 v45, 0, v45, s[0:1]
	v_fmac_f32_e32 v70, v65, v53
	v_pk_mul_f32 v[64:65], v[44:45], v[8:9] op_sel_hi:[0,1]
	v_mul_f32_e32 v47, 0x3fb8aa3b, v65
	v_fma_f32 v54, v65, s19, -v47
	v_rndne_f32_e32 v55, v47
	v_fmac_f32_e32 v54, 0x32a5705f, v65
	v_sub_f32_e32 v47, v47, v55
	v_add_f32_e32 v47, v47, v54
	ds_read_b128 v[26:29], v56 offset:32
	ds_read_b128 v[60:63], v56 offset:48
	v_exp_f32_e32 v47, v47
	v_cmp_nlt_f32_e64 s[0:1], s18, v42
	v_cndmask_b32_e64 v42, v58, v45, s[0:1]
	v_fmac_f32_e32 v70, v66, v32
	s_waitcnt lgkmcnt(1)
	v_pk_mul_f32 v[26:27], v[46:47], v[26:27] op_sel_hi:[0,1]
	v_cvt_i32_f32_e32 v66, v55
	v_pk_fma_f32 v[54:55], v[22:23], v[42:43], v[26:27]
	v_mul_f32_e32 v23, 0x3fb8aa3b, v64
	v_fma_f32 v26, v64, s19, -v23
	v_rndne_f32_e32 v27, v23
	v_fmac_f32_e32 v26, 0x32a5705f, v64
	v_sub_f32_e32 v23, v23, v27
	v_add_f32_e32 v23, v23, v26
	v_exp_f32_e32 v26, v23
	v_cvt_i32_f32_e32 v27, v27
	v_ldexp_f32 v22, v47, v66
	v_cmp_ngt_f32_e64 s[0:1], s7, v65
	v_cndmask_b32_e64 v22, 0, v22, s[0:1]
	v_cmp_nlt_f32_e64 s[0:1], s18, v65
	v_cndmask_b32_e64 v23, v58, v22, s[0:1]
	v_ldexp_f32 v22, v26, v27
	v_cmp_ngt_f32_e64 s[0:1], s7, v64
	v_cndmask_b32_e64 v22, 0, v22, s[0:1]
	v_cmp_nlt_f32_e64 s[0:1], s18, v64
	v_cndmask_b32_e64 v22, v58, v22, s[0:1]
	v_pk_mul_f32 v[26:27], v[46:47], v[28:29] op_sel_hi:[0,1]
	v_pk_fma_f32 v[42:43], v[24:25], v[22:23], v[26:27]
	v_pk_mul_f32 v[26:27], v[44:45], v[2:3] op_sel_hi:[0,1]
	v_mul_f32_e32 v28, 0x3fb8aa3b, v27
	v_fma_f32 v29, v27, s19, -v28
	v_rndne_f32_e32 v45, v28
	v_fmac_f32_e32 v29, 0x32a5705f, v27
	v_sub_f32_e32 v28, v28, v45
	v_add_f32_e32 v28, v28, v29
	v_exp_f32_e32 v28, v28
	v_cvt_i32_f32_e32 v29, v45
	v_cmp_ngt_f32_e64 s[0:1], s7, v27
	v_fmac_f32_e32 v70, v67, v33
	ds_read_b128 v[64:67], v56 offset:96
	ds_read_b128 v[22:25], v56 offset:112
	v_ldexp_f32 v28, v28, v29
	v_mul_f32_e32 v29, 0x3fb8aa3b, v26
	v_fma_f32 v45, v26, s19, -v29
	v_rndne_f32_e32 v47, v29
	v_fmac_f32_e32 v45, 0x32a5705f, v26
	v_sub_f32_e32 v29, v29, v47
	v_add_f32_e32 v29, v29, v45
	v_exp_f32_e32 v29, v29
	v_cvt_i32_f32_e32 v45, v47
	v_cndmask_b32_e64 v28, 0, v28, s[0:1]
	v_cmp_nlt_f32_e64 s[0:1], s18, v27
	v_cndmask_b32_e64 v27, v58, v28, s[0:1]
	v_ldexp_f32 v28, v29, v45
	v_cmp_ngt_f32_e64 s[0:1], s7, v26
	v_cndmask_b32_e64 v28, 0, v28, s[0:1]
	v_cmp_nlt_f32_e64 s[0:1], s18, v26
	v_cndmask_b32_e64 v26, v58, v28, s[0:1]
	s_waitcnt lgkmcnt(2)
	v_pk_mul_f32 v[28:29], v[46:47], v[60:61] op_sel_hi:[0,1]
	v_pk_mul_f32 v[60:61], v[44:45], v[4:5] op_sel_hi:[0,1]
	v_mul_f32_e32 v44, 0x3fb8aa3b, v61
	s_waitcnt lgkmcnt(1)
	v_fmac_f32_e32 v70, v64, v54
	v_fma_f32 v45, v61, s19, -v44
	v_rndne_f32_e32 v47, v44
	v_fmac_f32_e32 v70, v65, v55
	v_fmac_f32_e32 v45, 0x32a5705f, v61
	v_sub_f32_e32 v44, v44, v47
	v_fmac_f32_e32 v70, v66, v42
	v_add_f32_e32 v44, v44, v45
	v_fmac_f32_e32 v70, v67, v43
	v_exp_f32_e32 v56, v44
	v_pk_fma_f32 v[44:45], v[18:19], v[26:27], v[28:29]
	s_waitcnt lgkmcnt(0)
	v_fmac_f32_e32 v70, v22, v44
	v_mul_f32_e32 v19, 0x3fb8aa3b, v60
	v_fmac_f32_e32 v70, v23, v45
	v_fma_f32 v22, v60, s19, -v19
	v_rndne_f32_e32 v23, v19
	v_cvt_i32_f32_e32 v47, v47
	v_fmac_f32_e32 v22, 0x32a5705f, v60
	v_sub_f32_e32 v19, v19, v23
	v_add_f32_e32 v19, v19, v22
	v_exp_f32_e32 v22, v19
	v_cvt_i32_f32_e32 v23, v23
	v_ldexp_f32 v18, v56, v47
	v_cmp_ngt_f32_e64 s[0:1], s7, v61
	v_cndmask_b32_e64 v18, 0, v18, s[0:1]
	v_cmp_nlt_f32_e64 s[0:1], s18, v61
	v_cndmask_b32_e64 v19, v58, v18, s[0:1]
	v_ldexp_f32 v18, v22, v23
	v_cmp_ngt_f32_e64 s[0:1], s7, v60
	v_cndmask_b32_e64 v18, 0, v18, s[0:1]
	v_cmp_nlt_f32_e64 s[0:1], s18, v60
	v_cndmask_b32_e64 v18, v58, v18, s[0:1]
	v_pk_mul_f32 v[22:23], v[46:47], v[62:63] op_sel_hi:[0,1]
	v_pk_fma_f32 v[46:47], v[20:21], v[18:19], v[22:23]
	v_fmac_f32_e32 v70, v24, v46
	v_fmac_f32_e32 v70, v25, v47
	global_store_dword v57, v70, s[2:3]
	s_barrier
	s_and_saveexec_b64 s[2:3], vcc
	s_cbranch_execz .LBB5_6
; %bb.5:
	s_lshl_b64 s[0:1], s[8:9], 2
	v_mov_b32_e32 v19, s1
	v_add_co_u32_e64 v18, s[0:1], s0, v0
	v_addc_co_u32_e64 v19, s[0:1], v1, v19, s[0:1]
	s_lshl_b64 s[0:1], s[10:11], 2
	global_load_dword v20, v[18:19], off
	v_mov_b32_e32 v19, s1
	v_add_co_u32_e64 v18, s[0:1], s0, v36
	v_addc_co_u32_e64 v19, s[0:1], v37, v19, s[0:1]
	global_load_dword v18, v[18:19], off
	s_waitcnt vmcnt(1)
	ds_write_b32 v57, v20
	s_waitcnt vmcnt(0)
	ds_write_b32 v59, v18
.LBB5_6:
	s_or_b64 exec, exec, s[2:3]
	s_ashr_i32 s0, s28, 2
	s_ashr_i32 s1, s0, 31
	s_lshl_b64 s[18:19], s[0:1], 2
	v_mov_b32_e32 v18, s19
	v_add_co_u32_e64 v48, s[0:1], s18, v48
	v_addc_co_u32_e64 v49, s[0:1], v49, v18, s[0:1]
	s_waitcnt lgkmcnt(0)
	s_barrier
	global_load_dword v56, v[48:49], off
	s_mov_b32 s0, 0x41a00000
	s_waitcnt vmcnt(0)
	v_cmp_ge_f32_e64 s[0:1], s0, v56
	s_and_saveexec_b64 s[4:5], s[0:1]
	s_cbranch_execz .LBB5_8
; %bb.7:
	v_mul_f32_e32 v18, 0x3fb8aa3b, v56
	s_mov_b32 s0, 0x3fb8aa3b
	v_rndne_f32_e32 v19, v18
	v_sub_f32_e32 v20, v18, v19
	v_fma_f32 v18, v56, s0, -v18
	v_fmac_f32_e32 v18, 0x32a5705f, v56
	v_add_f32_e32 v18, v20, v18
	v_exp_f32_e32 v18, v18
	v_cvt_i32_f32_e32 v19, v19
	s_mov_b32 s0, 0xc2ce8ed0
	v_cmp_ngt_f32_e64 s[0:1], s0, v56
	s_mov_b32 s2, 0x7f800000
	v_ldexp_f32 v18, v18, v19
	v_cndmask_b32_e64 v18, 0, v18, s[0:1]
	s_mov_b32 s0, 0x42b17218
	v_mov_b32_e32 v19, 0x7f800000
	v_cmp_nlt_f32_e64 s[0:1], s0, v56
	v_cndmask_b32_e64 v56, v19, v18, s[0:1]
	v_add_f32_e32 v20, 1.0, v56
	v_add_f32_e32 v18, -1.0, v20
	v_sub_f32_e32 v19, v18, v20
	v_add_f32_e32 v19, 1.0, v19
	v_sub_f32_e32 v18, v56, v18
	v_add_f32_e32 v21, v18, v19
	v_frexp_mant_f32_e32 v22, v20
	s_mov_b32 s0, 0x3f2aaaab
	v_cvt_f64_f32_e32 v[18:19], v20
	v_frexp_exp_i32_f64_e32 v18, v[18:19]
	v_cmp_gt_f32_e64 s[0:1], s0, v22
	v_subbrev_co_u32_e64 v26, s[0:1], 0, v18, s[0:1]
	v_sub_u32_e32 v18, 0, v26
	v_ldexp_f32 v19, v20, v18
	v_add_f32_e32 v20, -1.0, v19
	v_add_f32_e32 v22, 1.0, v19
	v_ldexp_f32 v18, v21, v18
	v_add_f32_e32 v21, 1.0, v20
	v_add_f32_e32 v23, -1.0, v22
	v_sub_f32_e32 v21, v19, v21
	v_sub_f32_e32 v19, v19, v23
	v_add_f32_e32 v21, v18, v21
	v_add_f32_e32 v18, v18, v19
	;; [unrolled: 1-line block ×3, first 2 shown]
	v_rcp_f32_e32 v29, v27
	v_sub_f32_e32 v19, v22, v27
	v_add_f32_e32 v28, v18, v19
	v_add_f32_e32 v19, v20, v21
	v_mul_f32_e32 v60, v19, v29
	v_sub_f32_e32 v18, v20, v19
	v_mul_f32_e32 v20, v27, v60
	v_fma_f32 v22, v60, v27, -v20
	v_fmac_f32_e32 v22, v60, v28
	v_add_f32_e32 v58, v21, v18
	v_add_f32_e32 v18, v20, v22
	v_sub_f32_e32 v21, v19, v18
	v_pk_add_f32 v[24:25], v[18:19], v[20:21] neg_lo:[0,1] neg_hi:[0,1]
	v_mov_b32_e32 v23, v18
	v_pk_add_f32 v[18:19], v[24:25], v[22:23] neg_lo:[0,1] neg_hi:[0,1]
	v_add_f32_e32 v19, v58, v19
	v_add_f32_e32 v18, v18, v19
	;; [unrolled: 1-line block ×3, first 2 shown]
	v_mul_f32_e32 v58, v29, v19
	v_mul_f32_e32 v20, v27, v58
	v_fma_f32 v22, v58, v27, -v20
	v_fmac_f32_e32 v22, v58, v28
	v_sub_f32_e32 v21, v21, v19
	v_add_f32_e32 v27, v18, v21
	v_add_f32_e32 v18, v20, v22
	v_sub_f32_e32 v21, v19, v18
	v_pk_add_f32 v[24:25], v[18:19], v[20:21] neg_lo:[0,1] neg_hi:[0,1]
	v_mov_b32_e32 v23, v18
	v_pk_add_f32 v[18:19], v[24:25], v[22:23] neg_lo:[0,1] neg_hi:[0,1]
	v_add_f32_e32 v19, v27, v19
	v_add_f32_e32 v18, v18, v19
	;; [unrolled: 1-line block ×4, first 2 shown]
	v_sub_f32_e32 v19, v21, v60
	v_mul_f32_e32 v18, v29, v18
	v_sub_f32_e32 v19, v58, v19
	v_add_f32_e32 v18, v19, v18
	v_add_f32_e32 v22, v21, v18
	v_mul_f32_e32 v24, v22, v22
	v_mov_b32_e32 v20, 0x3ecc95a3
	v_fmac_f32_e32 v20, 0x3e9b6dac, v24
	v_mov_b32_e32 v19, 0x3f2aaada
	v_fmac_f32_e32 v19, v24, v20
	v_cvt_f32_i32_e32 v20, v26
	v_sub_f32_e32 v21, v22, v21
	v_sub_f32_e32 v18, v18, v21
	v_ldexp_f32 v25, v18, 1
	v_mul_f32_e32 v21, v22, v24
	v_mov_b32_e32 v18, 0x3f317218
	s_mov_b32 s0, 0x3f317218
	v_pk_mul_f32 v[18:19], v[20:21], v[18:19]
	v_ldexp_f32 v23, v22, 1
	v_fma_f32 v22, v20, s0, -v18
	v_fmac_f32_e32 v22, 0xb102e308, v20
	v_pk_add_f32 v[20:21], v[18:19], v[22:23]
	v_sub_f32_e32 v23, v21, v23
	v_sub_f32_e32 v23, v19, v23
	v_add_f32_e32 v25, v25, v23
	v_mov_b32_e32 v24, v18
	v_pk_add_f32 v[18:19], v[20:21], v[18:19] neg_lo:[0,1] neg_hi:[0,1]
	v_pk_add_f32 v[26:27], v[20:21], v[24:25]
	v_mov_b32_e32 v19, v27
	v_mov_b32_e32 v23, v20
	v_pk_add_f32 v[28:29], v[22:23], v[18:19] neg_lo:[0,1] neg_hi:[0,1]
	v_pk_add_f32 v[18:19], v[22:23], v[18:19]
	v_mov_b32_e32 v22, v19
	v_pk_add_f32 v[60:61], v[22:23], v[20:21] neg_lo:[0,1] neg_hi:[0,1]
	v_mov_b32_e32 v23, v60
	v_pk_add_f32 v[62:63], v[26:27], v[22:23] neg_lo:[0,1] neg_hi:[0,1]
	v_mov_b32_e32 v18, v27
	v_mov_b32_e32 v26, v21
	;; [unrolled: 1-line block ×4, first 2 shown]
	v_pk_add_f32 v[18:19], v[18:19], v[26:27] neg_lo:[0,1] neg_hi:[0,1]
	v_mov_b32_e32 v24, v25
	v_mov_b32_e32 v25, v20
	v_pk_add_f32 v[18:19], v[24:25], v[18:19] neg_lo:[0,1] neg_hi:[0,1]
	v_mov_b32_e32 v62, v28
	v_pk_add_f32 v[20:21], v[62:63], v[18:19]
	v_mov_b32_e32 v24, v21
	v_pk_add_f32 v[24:25], v[20:21], v[24:25]
	v_pk_add_f32 v[22:23], v[22:23], v[24:25]
	v_mov_b32_e32 v21, v22
	v_pk_add_f32 v[26:27], v[20:21], v[28:29] neg_lo:[0,1] neg_hi:[0,1]
	v_mov_b32_e32 v19, v24
	v_sub_f32_e32 v20, v20, v26
	v_pk_add_f32 v[18:19], v[18:19], v[26:27] neg_lo:[0,1] neg_hi:[0,1]
	v_sub_f32_e32 v20, v28, v20
	v_add_f32_e32 v18, v18, v20
	v_cmp_eq_f32_e64 s[0:1], s2, v56
	s_mov_b32 s2, 0x33800000
	v_add_f32_e32 v18, v18, v19
	v_cmp_gt_f32_e64 s[2:3], s2, v56
	v_add_f32_e32 v18, v22, v18
	s_or_b64 s[0:1], s[2:3], s[0:1]
	v_cndmask_b32_e64 v56, v18, v56, s[0:1]
.LBB5_8:
	s_or_b64 exec, exec, s[4:5]
	s_ashr_i32 s0, s26, 2
	s_ashr_i32 s1, s0, 31
	s_lshl_b64 s[20:21], s[0:1], 2
	v_mov_b32_e32 v18, s21
	v_add_co_u32_e64 v50, s[0:1], s20, v50
	v_addc_co_u32_e64 v51, s[0:1], v51, v18, s[0:1]
	global_load_dword v58, v[50:51], off
	v_pk_mul_f32 v[64:65], v[56:57], v[14:15] op_sel_hi:[0,1]
	s_mov_b32 s24, 0x3fb8aa3b
	v_mul_f32_e32 v66, 0x3fb8aa3b, v65
	v_pk_mul_f32 v[72:73], v[56:57], v[16:17] op_sel_hi:[0,1]
	v_mul_f32_e32 v67, 0x3fb8aa3b, v64
	v_fma_f32 v71, v65, s24, -v66
	v_rndne_f32_e32 v76, v66
	v_mul_f32_e32 v68, 0x3fb8aa3b, v73
	v_fma_f32 v77, v64, s24, -v67
	v_rndne_f32_e32 v80, v67
	v_fmac_f32_e32 v71, 0x32a5705f, v65
	v_sub_f32_e32 v66, v66, v76
	v_mul_f32_e32 v69, 0x3fb8aa3b, v72
	v_fma_f32 v81, v73, s24, -v68
	v_rndne_f32_e32 v82, v68
	v_add_f32_e32 v66, v66, v71
	v_fmac_f32_e32 v77, 0x32a5705f, v64
	v_sub_f32_e32 v67, v67, v80
	v_fma_f32 v83, v72, s24, -v69
	v_rndne_f32_e32 v84, v69
	v_add_f32_e32 v67, v67, v77
	v_cvt_i32_f32_e32 v76, v76
	v_fmac_f32_e32 v81, 0x32a5705f, v73
	v_sub_f32_e32 v68, v68, v82
	v_exp_f32_e32 v66, v66
	v_cvt_i32_f32_e32 v77, v80
	v_fmac_f32_e32 v83, 0x32a5705f, v72
	v_sub_f32_e32 v69, v69, v84
	v_add_f32_e32 v68, v68, v81
	v_exp_f32_e32 v67, v67
	v_mov_b32_e32 v78, 0
	v_cvt_i32_f32_e32 v80, v82
	v_add_f32_e32 v69, v69, v83
	v_exp_f32_e32 v68, v68
	v_pk_mul_f32 v[74:75], v[56:57], v[10:11] op_sel_hi:[0,1]
	ds_read_b128 v[26:29], v78
	ds_read_b128 v[60:63], v78 offset:16
	v_cvt_i32_f32_e32 v82, v84
	v_exp_f32_e32 v83, v69
	v_mul_f32_e32 v70, 0x3fb8aa3b, v75
	v_ldexp_f32 v66, v66, v76
	v_cmp_ngt_f32_e64 s[0:1], s7, v65
	s_bfe_i64 s[16:17], s[14:15], 0x200000
	s_mov_b32 s15, 0x42b17218
	v_fma_f32 v71, v75, s24, -v70
	v_rndne_f32_e32 v85, v70
	v_ldexp_f32 v67, v67, v77
	v_cndmask_b32_e64 v77, 0, v66, s[0:1]
	v_cmp_ngt_f32_e64 s[0:1], s7, v64
	v_mov_b32_e32 v79, 0x7f800000
	v_fmac_f32_e32 v71, 0x32a5705f, v75
	v_sub_f32_e32 v70, v70, v85
	v_ldexp_f32 v76, v68, v80
	v_cndmask_b32_e64 v80, 0, v67, s[0:1]
	v_cmp_nlt_f32_e64 s[0:1], s15, v65
	v_cmp_nlt_f32_e64 s[2:3], s15, v64
	v_cmp_ngt_f32_e64 s[4:5], s7, v73
	v_add_f32_e32 v81, v70, v71
	v_ldexp_f32 v82, v83, v82
	v_cndmask_b32_e64 v83, 0, v76, s[4:5]
	v_cndmask_b32_e64 v77, v79, v77, s[0:1]
	;; [unrolled: 1-line block ×3, first 2 shown]
	v_cmp_ngt_f32_e64 s[4:5], s7, v72
	v_cmp_nlt_f32_e64 s[0:1], s15, v73
	v_cndmask_b32_e64 v82, 0, v82, s[4:5]
	v_cndmask_b32_e64 v73, v79, v83, s[0:1]
	v_cmp_nlt_f32_e64 s[0:1], s15, v72
	v_cndmask_b32_e64 v72, v79, v82, s[0:1]
	ds_read_b128 v[22:25], v78 offset:32
	ds_read_b128 v[18:21], v78 offset:48
	ds_read_b128 v[64:67], v78 offset:64
	ds_read_b128 v[68:71], v78 offset:80
	v_cmp_ngt_f32_e64 s[0:1], s7, v75
	s_mov_b32 s26, 0
	s_waitcnt vmcnt(0)
	v_mul_f32_e32 v58, v56, v58
	s_waitcnt lgkmcnt(5)
	v_pk_mul_f32 v[26:27], v[58:59], v[26:27] op_sel_hi:[0,1]
	v_pk_fma_f32 v[26:27], v[30:31], v[76:77], v[26:27]
	v_exp_f32_e32 v30, v81
	v_cvt_i32_f32_e32 v31, v85
	v_pk_mul_f32 v[28:29], v[58:59], v[28:29] op_sel_hi:[0,1]
	v_pk_fma_f32 v[28:29], v[40:41], v[72:73], v[28:29]
	s_waitcnt lgkmcnt(1)
	v_fma_f32 v64, v64, v26, 0
	v_ldexp_f32 v30, v30, v31
	v_mul_f32_e32 v31, 0x3fb8aa3b, v74
	v_fma_f32 v40, v74, s24, -v31
	v_rndne_f32_e32 v41, v31
	v_fmac_f32_e32 v40, 0x32a5705f, v74
	v_sub_f32_e32 v31, v31, v41
	v_add_f32_e32 v31, v31, v40
	v_exp_f32_e32 v40, v31
	v_cvt_i32_f32_e32 v41, v41
	v_cndmask_b32_e64 v30, 0, v30, s[0:1]
	v_cmp_nlt_f32_e64 s[0:1], s15, v75
	v_fmac_f32_e32 v64, v65, v27
	v_cndmask_b32_e64 v31, v79, v30, s[0:1]
	v_ldexp_f32 v30, v40, v41
	v_cmp_ngt_f32_e64 s[0:1], s7, v74
	v_pk_mul_f32 v[40:41], v[58:59], v[60:61] op_sel_hi:[0,1]
	v_pk_mul_f32 v[60:61], v[56:57], v[12:13] op_sel_hi:[0,1]
	v_fmac_f32_e32 v64, v66, v28
	v_cndmask_b32_e64 v30, 0, v30, s[0:1]
	v_cmp_nlt_f32_e64 s[0:1], s15, v74
	v_mul_f32_e32 v65, 0x3fb8aa3b, v61
	v_fmac_f32_e32 v64, v67, v29
	v_cndmask_b32_e64 v30, v79, v30, s[0:1]
	v_fma_f32 v66, v61, s24, -v65
	v_rndne_f32_e32 v67, v65
	v_fmac_f32_e32 v66, 0x32a5705f, v61
	v_sub_f32_e32 v65, v65, v67
	v_pk_fma_f32 v[30:31], v[52:53], v[30:31], v[40:41]
	v_mul_f32_e32 v41, 0x3fb8aa3b, v60
	v_add_f32_e32 v65, v65, v66
	v_fma_f32 v52, v60, s24, -v41
	v_rndne_f32_e32 v53, v41
	v_exp_f32_e32 v65, v65
	v_cvt_i32_f32_e32 v66, v67
	v_fmac_f32_e32 v52, 0x32a5705f, v60
	v_sub_f32_e32 v41, v41, v53
	v_add_f32_e32 v41, v41, v52
	v_exp_f32_e32 v52, v41
	v_cvt_i32_f32_e32 v53, v53
	v_ldexp_f32 v40, v65, v66
	v_cmp_ngt_f32_e64 s[0:1], s7, v61
	v_cndmask_b32_e64 v40, 0, v40, s[0:1]
	v_cmp_nlt_f32_e64 s[0:1], s15, v61
	v_cndmask_b32_e64 v41, v79, v40, s[0:1]
	v_ldexp_f32 v40, v52, v53
	v_cmp_ngt_f32_e64 s[0:1], s7, v60
	v_cndmask_b32_e64 v40, 0, v40, s[0:1]
	v_cmp_nlt_f32_e64 s[0:1], s15, v60
	v_pk_mul_f32 v[60:61], v[56:57], v[6:7] op_sel_hi:[0,1]
	v_pk_mul_f32 v[52:53], v[58:59], v[62:63] op_sel_hi:[0,1]
	v_mul_f32_e32 v62, 0x3fb8aa3b, v61
	v_cndmask_b32_e64 v40, v79, v40, s[0:1]
	v_fma_f32 v63, v61, s24, -v62
	v_rndne_f32_e32 v65, v62
	v_fmac_f32_e32 v63, 0x32a5705f, v61
	v_sub_f32_e32 v62, v62, v65
	v_pk_fma_f32 v[32:33], v[32:33], v[40:41], v[52:53]
	v_mul_f32_e32 v41, 0x3fb8aa3b, v60
	v_add_f32_e32 v62, v62, v63
	v_fma_f32 v52, v60, s24, -v41
	v_rndne_f32_e32 v53, v41
	v_exp_f32_e32 v62, v62
	v_cvt_i32_f32_e32 v63, v65
	v_fmac_f32_e32 v52, 0x32a5705f, v60
	v_sub_f32_e32 v41, v41, v53
	v_add_f32_e32 v41, v41, v52
	v_exp_f32_e32 v52, v41
	v_cvt_i32_f32_e32 v53, v53
	v_ldexp_f32 v40, v62, v63
	v_cmp_ngt_f32_e64 s[0:1], s7, v61
	v_cndmask_b32_e64 v40, 0, v40, s[0:1]
	v_cmp_nlt_f32_e64 s[0:1], s15, v61
	v_cndmask_b32_e64 v41, v79, v40, s[0:1]
	v_ldexp_f32 v40, v52, v53
	v_cmp_ngt_f32_e64 s[0:1], s7, v60
	v_cndmask_b32_e64 v40, 0, v40, s[0:1]
	v_cmp_nlt_f32_e64 s[0:1], s15, v60
	v_cndmask_b32_e64 v40, v79, v40, s[0:1]
	v_pk_mul_f32 v[22:23], v[58:59], v[22:23] op_sel_hi:[0,1]
	v_pk_fma_f32 v[40:41], v[54:55], v[40:41], v[22:23]
	v_pk_mul_f32 v[22:23], v[56:57], v[8:9] op_sel_hi:[0,1]
	v_mul_f32_e32 v52, 0x3fb8aa3b, v23
	v_rndne_f32_e32 v61, v52
	v_fma_f32 v60, v23, s24, -v52
	v_sub_f32_e32 v62, v52, v61
	ds_read_b128 v[52:55], v78 offset:96
	s_waitcnt lgkmcnt(1)
	v_fmac_f32_e32 v64, v68, v30
	v_fmac_f32_e32 v60, 0x32a5705f, v23
	;; [unrolled: 1-line block ×3, first 2 shown]
	v_add_f32_e32 v60, v62, v60
	v_fmac_f32_e32 v64, v70, v32
	v_exp_f32_e32 v65, v60
	v_cvt_i32_f32_e32 v66, v61
	ds_read_b128 v[60:63], v78 offset:112
	v_fmac_f32_e32 v64, v71, v33
	s_waitcnt lgkmcnt(1)
	v_fmac_f32_e32 v64, v52, v40
	v_fmac_f32_e32 v64, v53, v41
	v_mul_f32_e32 v53, 0x3fb8aa3b, v22
	v_ldexp_f32 v52, v65, v66
	v_fma_f32 v65, v22, s24, -v53
	v_rndne_f32_e32 v66, v53
	v_fmac_f32_e32 v65, 0x32a5705f, v22
	v_sub_f32_e32 v53, v53, v66
	v_add_f32_e32 v53, v53, v65
	v_exp_f32_e32 v53, v53
	v_cvt_i32_f32_e32 v65, v66
	v_cmp_ngt_f32_e64 s[0:1], s7, v23
	v_cndmask_b32_e64 v52, 0, v52, s[0:1]
	v_cmp_nlt_f32_e64 s[0:1], s15, v23
	v_cndmask_b32_e64 v23, v79, v52, s[0:1]
	v_ldexp_f32 v52, v53, v65
	v_cmp_ngt_f32_e64 s[0:1], s7, v22
	v_cndmask_b32_e64 v52, 0, v52, s[0:1]
	v_cmp_nlt_f32_e64 s[0:1], s15, v22
	v_cndmask_b32_e64 v22, v79, v52, s[0:1]
	v_pk_mul_f32 v[52:53], v[56:57], v[2:3] op_sel_hi:[0,1]
	v_mul_f32_e32 v65, 0x3fb8aa3b, v53
	v_pk_mul_f32 v[24:25], v[58:59], v[24:25] op_sel_hi:[0,1]
	v_fma_f32 v66, v53, s24, -v65
	v_rndne_f32_e32 v67, v65
	v_fmac_f32_e32 v66, 0x32a5705f, v53
	v_sub_f32_e32 v65, v65, v67
	v_pk_fma_f32 v[42:43], v[42:43], v[22:23], v[24:25]
	v_mul_f32_e32 v23, 0x3fb8aa3b, v52
	v_add_f32_e32 v65, v65, v66
	v_fma_f32 v24, v52, s24, -v23
	v_rndne_f32_e32 v25, v23
	v_exp_f32_e32 v65, v65
	v_cvt_i32_f32_e32 v66, v67
	v_fmac_f32_e32 v24, 0x32a5705f, v52
	v_sub_f32_e32 v23, v23, v25
	v_add_f32_e32 v23, v23, v24
	v_exp_f32_e32 v24, v23
	v_cvt_i32_f32_e32 v25, v25
	v_ldexp_f32 v22, v65, v66
	v_cmp_ngt_f32_e64 s[0:1], s7, v53
	v_cndmask_b32_e64 v22, 0, v22, s[0:1]
	v_cmp_nlt_f32_e64 s[0:1], s15, v53
	v_cndmask_b32_e64 v23, v79, v22, s[0:1]
	v_ldexp_f32 v22, v24, v25
	v_cmp_ngt_f32_e64 s[0:1], s7, v52
	v_pk_mul_f32 v[24:25], v[56:57], v[4:5] op_sel_hi:[0,1]
	v_cndmask_b32_e64 v22, 0, v22, s[0:1]
	v_cmp_nlt_f32_e64 s[0:1], s15, v52
	v_mul_f32_e32 v52, 0x3fb8aa3b, v25
	v_fmac_f32_e32 v64, v54, v42
	v_cndmask_b32_e64 v22, v79, v22, s[0:1]
	v_pk_mul_f32 v[18:19], v[58:59], v[18:19] op_sel_hi:[0,1]
	v_fma_f32 v53, v25, s24, -v52
	v_rndne_f32_e32 v54, v52
	v_fmac_f32_e32 v53, 0x32a5705f, v25
	v_sub_f32_e32 v52, v52, v54
	v_pk_fma_f32 v[44:45], v[44:45], v[22:23], v[18:19]
	v_mul_f32_e32 v19, 0x3fb8aa3b, v24
	v_add_f32_e32 v52, v52, v53
	v_fma_f32 v22, v24, s24, -v19
	v_rndne_f32_e32 v23, v19
	v_exp_f32_e32 v52, v52
	v_cvt_i32_f32_e32 v53, v54
	v_fmac_f32_e32 v22, 0x32a5705f, v24
	v_sub_f32_e32 v19, v19, v23
	v_add_f32_e32 v19, v19, v22
	v_exp_f32_e32 v22, v19
	v_cvt_i32_f32_e32 v23, v23
	v_ldexp_f32 v18, v52, v53
	v_cmp_ngt_f32_e64 s[0:1], s7, v25
	v_cndmask_b32_e64 v18, 0, v18, s[0:1]
	v_cmp_nlt_f32_e64 s[0:1], s15, v25
	v_cndmask_b32_e64 v19, v79, v18, s[0:1]
	v_ldexp_f32 v18, v22, v23
	v_cmp_ngt_f32_e64 s[0:1], s7, v24
	v_fmac_f32_e32 v64, v55, v43
	v_cndmask_b32_e64 v18, 0, v18, s[0:1]
	v_cmp_nlt_f32_e64 s[0:1], s15, v24
	s_waitcnt lgkmcnt(0)
	v_fmac_f32_e32 v64, v60, v44
	v_cndmask_b32_e64 v18, v79, v18, s[0:1]
	v_pk_mul_f32 v[20:21], v[58:59], v[20:21] op_sel_hi:[0,1]
	v_fmac_f32_e32 v64, v61, v45
	v_pk_fma_f32 v[46:47], v[46:47], v[18:19], v[20:21]
	s_lshl_b64 s[0:1], s[16:17], 2
	v_fmac_f32_e32 v64, v62, v46
	v_mov_b32_e32 v19, s1
	v_add_co_u32_e64 v18, s[0:1], s0, v38
	v_fmac_f32_e32 v64, v63, v47
	v_addc_co_u32_e64 v19, s[0:1], v39, v19, s[0:1]
	global_store_dword v[18:19], v64, off
	s_barrier
	s_and_saveexec_b64 s[2:3], vcc
	s_cbranch_execz .LBB5_10
; %bb.9:
	s_lshl_b64 s[0:1], s[8:9], 3
	v_mov_b32_e32 v19, s1
	v_add_co_u32_e64 v18, s[0:1], s0, v0
	v_addc_co_u32_e64 v19, s[0:1], v1, v19, s[0:1]
	s_lshl_b64 s[0:1], s[10:11], 3
	global_load_dword v20, v[18:19], off
	v_mov_b32_e32 v19, s1
	v_add_co_u32_e64 v18, s[0:1], s0, v36
	v_addc_co_u32_e64 v19, s[0:1], v37, v19, s[0:1]
	global_load_dword v18, v[18:19], off
	s_waitcnt vmcnt(1)
	ds_write_b32 v57, v20
	s_waitcnt vmcnt(0)
	ds_write_b32 v59, v18
.LBB5_10:
	s_or_b64 exec, exec, s[2:3]
	v_mov_b32_e32 v18, s19
	v_add_co_u32_e64 v52, s[0:1], s18, v48
	v_addc_co_u32_e64 v53, s[0:1], v49, v18, s[0:1]
	s_waitcnt lgkmcnt(0)
	s_barrier
	global_load_dword v56, v[52:53], off
	s_mov_b32 s0, 0x41a00000
	s_mov_b32 s27, s14
	s_waitcnt vmcnt(0)
	v_cmp_ge_f32_e64 s[0:1], s0, v56
	s_and_saveexec_b64 s[4:5], s[0:1]
	s_cbranch_execz .LBB5_12
; %bb.11:
	v_mul_f32_e32 v18, 0x3fb8aa3b, v56
	s_mov_b32 s0, 0x3fb8aa3b
	v_rndne_f32_e32 v19, v18
	v_sub_f32_e32 v20, v18, v19
	v_fma_f32 v18, v56, s0, -v18
	v_fmac_f32_e32 v18, 0x32a5705f, v56
	v_add_f32_e32 v18, v20, v18
	v_exp_f32_e32 v18, v18
	v_cvt_i32_f32_e32 v19, v19
	s_mov_b32 s0, 0xc2ce8ed0
	v_cmp_ngt_f32_e64 s[0:1], s0, v56
	s_mov_b32 s2, 0x7f800000
	v_ldexp_f32 v18, v18, v19
	v_cndmask_b32_e64 v18, 0, v18, s[0:1]
	s_mov_b32 s0, 0x42b17218
	v_mov_b32_e32 v19, 0x7f800000
	v_cmp_nlt_f32_e64 s[0:1], s0, v56
	v_cndmask_b32_e64 v56, v19, v18, s[0:1]
	v_add_f32_e32 v20, 1.0, v56
	v_add_f32_e32 v18, -1.0, v20
	v_sub_f32_e32 v19, v18, v20
	v_add_f32_e32 v19, 1.0, v19
	v_sub_f32_e32 v18, v56, v18
	v_add_f32_e32 v21, v18, v19
	v_frexp_mant_f32_e32 v22, v20
	s_mov_b32 s0, 0x3f2aaaab
	v_cvt_f64_f32_e32 v[18:19], v20
	v_frexp_exp_i32_f64_e32 v18, v[18:19]
	v_cmp_gt_f32_e64 s[0:1], s0, v22
	v_subbrev_co_u32_e64 v48, s[0:1], 0, v18, s[0:1]
	v_sub_u32_e32 v18, 0, v48
	v_ldexp_f32 v19, v20, v18
	v_add_f32_e32 v20, -1.0, v19
	v_add_f32_e32 v22, 1.0, v19
	v_ldexp_f32 v18, v21, v18
	v_add_f32_e32 v21, 1.0, v20
	v_add_f32_e32 v23, -1.0, v22
	v_sub_f32_e32 v21, v19, v21
	v_sub_f32_e32 v19, v19, v23
	v_add_f32_e32 v21, v18, v21
	v_add_f32_e32 v18, v18, v19
	;; [unrolled: 1-line block ×3, first 2 shown]
	v_rcp_f32_e32 v55, v49
	v_sub_f32_e32 v19, v22, v49
	v_add_f32_e32 v54, v18, v19
	v_add_f32_e32 v19, v20, v21
	v_mul_f32_e32 v60, v19, v55
	v_sub_f32_e32 v18, v20, v19
	v_mul_f32_e32 v20, v49, v60
	v_fma_f32 v22, v60, v49, -v20
	v_fmac_f32_e32 v22, v60, v54
	v_add_f32_e32 v58, v21, v18
	v_add_f32_e32 v18, v20, v22
	v_sub_f32_e32 v21, v19, v18
	v_pk_add_f32 v[24:25], v[18:19], v[20:21] neg_lo:[0,1] neg_hi:[0,1]
	v_mov_b32_e32 v23, v18
	v_pk_add_f32 v[18:19], v[24:25], v[22:23] neg_lo:[0,1] neg_hi:[0,1]
	v_add_f32_e32 v19, v58, v19
	v_add_f32_e32 v18, v18, v19
	;; [unrolled: 1-line block ×3, first 2 shown]
	v_mul_f32_e32 v58, v55, v19
	v_mul_f32_e32 v20, v49, v58
	v_fma_f32 v22, v58, v49, -v20
	v_fmac_f32_e32 v22, v58, v54
	v_sub_f32_e32 v21, v21, v19
	v_add_f32_e32 v49, v18, v21
	v_add_f32_e32 v18, v20, v22
	v_sub_f32_e32 v21, v19, v18
	v_pk_add_f32 v[24:25], v[18:19], v[20:21] neg_lo:[0,1] neg_hi:[0,1]
	v_mov_b32_e32 v23, v18
	v_pk_add_f32 v[18:19], v[24:25], v[22:23] neg_lo:[0,1] neg_hi:[0,1]
	v_add_f32_e32 v19, v49, v19
	v_add_f32_e32 v18, v18, v19
	;; [unrolled: 1-line block ×4, first 2 shown]
	v_sub_f32_e32 v19, v21, v60
	v_mul_f32_e32 v18, v55, v18
	v_sub_f32_e32 v19, v58, v19
	v_add_f32_e32 v18, v19, v18
	v_add_f32_e32 v22, v21, v18
	v_mul_f32_e32 v24, v22, v22
	v_mov_b32_e32 v20, 0x3ecc95a3
	v_fmac_f32_e32 v20, 0x3e9b6dac, v24
	v_mov_b32_e32 v19, 0x3f2aaada
	v_fmac_f32_e32 v19, v24, v20
	v_cvt_f32_i32_e32 v20, v48
	v_sub_f32_e32 v21, v22, v21
	v_sub_f32_e32 v18, v18, v21
	v_ldexp_f32 v25, v18, 1
	v_mul_f32_e32 v21, v22, v24
	v_mov_b32_e32 v18, 0x3f317218
	s_mov_b32 s0, 0x3f317218
	v_pk_mul_f32 v[18:19], v[20:21], v[18:19]
	v_ldexp_f32 v23, v22, 1
	v_fma_f32 v22, v20, s0, -v18
	v_fmac_f32_e32 v22, 0xb102e308, v20
	v_pk_add_f32 v[20:21], v[18:19], v[22:23]
	v_sub_f32_e32 v23, v21, v23
	v_sub_f32_e32 v23, v19, v23
	v_add_f32_e32 v25, v25, v23
	v_mov_b32_e32 v24, v18
	v_pk_add_f32 v[18:19], v[20:21], v[18:19] neg_lo:[0,1] neg_hi:[0,1]
	v_pk_add_f32 v[48:49], v[20:21], v[24:25]
	v_mov_b32_e32 v19, v49
	v_mov_b32_e32 v23, v20
	v_pk_add_f32 v[54:55], v[22:23], v[18:19] neg_lo:[0,1] neg_hi:[0,1]
	v_pk_add_f32 v[18:19], v[22:23], v[18:19]
	v_mov_b32_e32 v22, v19
	v_pk_add_f32 v[60:61], v[22:23], v[20:21] neg_lo:[0,1] neg_hi:[0,1]
	v_mov_b32_e32 v23, v60
	v_pk_add_f32 v[62:63], v[48:49], v[22:23] neg_lo:[0,1] neg_hi:[0,1]
	v_mov_b32_e32 v18, v49
	v_mov_b32_e32 v48, v21
	;; [unrolled: 1-line block ×4, first 2 shown]
	v_pk_add_f32 v[18:19], v[18:19], v[48:49] neg_lo:[0,1] neg_hi:[0,1]
	v_mov_b32_e32 v24, v25
	v_mov_b32_e32 v25, v20
	v_pk_add_f32 v[18:19], v[24:25], v[18:19] neg_lo:[0,1] neg_hi:[0,1]
	v_mov_b32_e32 v62, v54
	v_pk_add_f32 v[20:21], v[62:63], v[18:19]
	v_mov_b32_e32 v24, v21
	v_pk_add_f32 v[24:25], v[20:21], v[24:25]
	v_pk_add_f32 v[22:23], v[22:23], v[24:25]
	v_mov_b32_e32 v21, v22
	v_pk_add_f32 v[48:49], v[20:21], v[54:55] neg_lo:[0,1] neg_hi:[0,1]
	v_mov_b32_e32 v19, v24
	v_sub_f32_e32 v20, v20, v48
	v_pk_add_f32 v[18:19], v[18:19], v[48:49] neg_lo:[0,1] neg_hi:[0,1]
	v_sub_f32_e32 v20, v54, v20
	v_add_f32_e32 v18, v18, v20
	v_cmp_eq_f32_e64 s[0:1], s2, v56
	s_mov_b32 s2, 0x33800000
	v_add_f32_e32 v18, v18, v19
	v_cmp_gt_f32_e64 s[2:3], s2, v56
	v_add_f32_e32 v18, v22, v18
	s_or_b64 s[0:1], s[2:3], s[0:1]
	v_cndmask_b32_e64 v56, v18, v56, s[0:1]
.LBB5_12:
	s_or_b64 exec, exec, s[4:5]
	v_mov_b32_e32 v18, s21
	v_add_co_u32_e64 v50, s[0:1], s20, v50
	v_addc_co_u32_e64 v51, s[0:1], v51, v18, s[0:1]
	global_load_dword v58, v[50:51], off
	v_pk_mul_f32 v[48:49], v[56:57], v[14:15] op_sel_hi:[0,1]
	s_mov_b32 s4, 0x3fb8aa3b
	v_mul_f32_e32 v80, 0x3fb8aa3b, v49
	v_pk_mul_f32 v[54:55], v[56:57], v[16:17] op_sel_hi:[0,1]
	v_mul_f32_e32 v81, 0x3fb8aa3b, v48
	v_fma_f32 v85, v49, s4, -v80
	v_rndne_f32_e32 v89, v80
	v_mul_f32_e32 v82, 0x3fb8aa3b, v55
	v_fma_f32 v86, v48, s4, -v81
	v_rndne_f32_e32 v90, v81
	v_fmac_f32_e32 v85, 0x32a5705f, v49
	v_sub_f32_e32 v80, v80, v89
	v_mul_f32_e32 v83, 0x3fb8aa3b, v54
	v_fma_f32 v87, v55, s4, -v82
	v_rndne_f32_e32 v91, v82
	v_fmac_f32_e32 v86, 0x32a5705f, v48
	v_sub_f32_e32 v81, v81, v90
	v_add_f32_e32 v80, v80, v85
	v_fma_f32 v88, v54, s4, -v83
	v_rndne_f32_e32 v92, v83
	v_fmac_f32_e32 v87, 0x32a5705f, v55
	v_sub_f32_e32 v82, v82, v91
	v_cvt_i32_f32_e32 v89, v89
	v_add_f32_e32 v81, v81, v86
	v_exp_f32_e32 v80, v80
	v_fmac_f32_e32 v88, 0x32a5705f, v54
	v_cvt_i32_f32_e32 v90, v90
	v_sub_f32_e32 v83, v83, v92
	v_add_f32_e32 v82, v82, v87
	v_exp_f32_e32 v81, v81
	v_cvt_i32_f32_e32 v91, v91
	v_add_f32_e32 v83, v83, v88
	v_exp_f32_e32 v82, v82
	s_mov_b32 s2, 0xc2ce8ed0
	v_cvt_i32_f32_e32 v92, v92
	v_exp_f32_e32 v83, v83
	v_ldexp_f32 v80, v80, v89
	v_cmp_ngt_f32_e64 s[0:1], s2, v49
	v_ldexp_f32 v81, v81, v90
	v_cndmask_b32_e64 v80, 0, v80, s[0:1]
	v_cmp_ngt_f32_e64 s[0:1], s2, v48
	v_ldexp_f32 v82, v82, v91
	v_cndmask_b32_e64 v81, 0, v81, s[0:1]
	v_cmp_ngt_f32_e64 s[0:1], s2, v55
	s_mov_b32 s3, 0x42b17218
	v_ldexp_f32 v83, v83, v92
	v_cndmask_b32_e64 v82, 0, v82, s[0:1]
	v_cmp_ngt_f32_e64 s[0:1], s2, v54
	v_mov_b32_e32 v61, 0
	v_mov_b32_e32 v60, 0x7f800000
	v_cndmask_b32_e64 v83, 0, v83, s[0:1]
	v_cmp_nlt_f32_e64 s[0:1], s3, v49
	v_pk_mul_f32 v[78:79], v[56:57], v[10:11] op_sel_hi:[0,1]
	ds_read_b128 v[62:65], v61
	ds_read_b128 v[66:69], v61 offset:16
	ds_read_b128 v[22:25], v61 offset:32
	;; [unrolled: 1-line block ×3, first 2 shown]
	v_cndmask_b32_e64 v49, v60, v80, s[0:1]
	v_cmp_nlt_f32_e64 s[0:1], s3, v48
	v_mul_f32_e32 v84, 0x3fb8aa3b, v79
	v_cndmask_b32_e64 v48, v60, v81, s[0:1]
	v_cmp_nlt_f32_e64 s[0:1], s3, v55
	v_fma_f32 v93, v79, s4, -v84
	v_rndne_f32_e32 v94, v84
	v_cndmask_b32_e64 v81, v60, v82, s[0:1]
	v_cmp_nlt_f32_e64 s[0:1], s3, v54
	v_fmac_f32_e32 v93, 0x32a5705f, v79
	v_sub_f32_e32 v84, v84, v94
	v_cndmask_b32_e64 v80, v60, v83, s[0:1]
	v_add_f32_e32 v84, v84, v93
	v_cvt_i32_f32_e32 v94, v94
	v_exp_f32_e32 v84, v84
	v_cmp_ngt_f32_e64 s[0:1], s2, v79
	ds_read_b128 v[70:73], v61 offset:64
	ds_read_b128 v[74:77], v61 offset:80
	s_waitcnt vmcnt(0)
	v_mul_f32_e32 v58, v56, v58
	s_waitcnt lgkmcnt(5)
	v_pk_mul_f32 v[54:55], v[58:59], v[62:63] op_sel_hi:[0,1]
	v_pk_mul_f32 v[62:63], v[58:59], v[64:65] op_sel_hi:[0,1]
	v_pk_fma_f32 v[54:55], v[26:27], v[48:49], v[54:55]
	v_mul_f32_e32 v27, 0x3fb8aa3b, v78
	v_pk_fma_f32 v[48:49], v[28:29], v[80:81], v[62:63]
	v_fma_f32 v28, v78, s4, -v27
	v_rndne_f32_e32 v29, v27
	v_fmac_f32_e32 v28, 0x32a5705f, v78
	v_sub_f32_e32 v27, v27, v29
	v_add_f32_e32 v27, v27, v28
	v_exp_f32_e32 v28, v27
	v_cvt_i32_f32_e32 v29, v29
	v_ldexp_f32 v26, v84, v94
	v_cndmask_b32_e64 v26, 0, v26, s[0:1]
	v_cmp_nlt_f32_e64 s[0:1], s3, v79
	v_cndmask_b32_e64 v27, v60, v26, s[0:1]
	v_ldexp_f32 v26, v28, v29
	v_cmp_ngt_f32_e64 s[0:1], s2, v78
	v_pk_mul_f32 v[62:63], v[56:57], v[12:13] op_sel_hi:[0,1]
	v_cndmask_b32_e64 v26, 0, v26, s[0:1]
	v_cmp_nlt_f32_e64 s[0:1], s3, v78
	v_mul_f32_e32 v64, 0x3fb8aa3b, v63
	v_cndmask_b32_e64 v26, v60, v26, s[0:1]
	s_waitcnt lgkmcnt(4)
	v_pk_mul_f32 v[28:29], v[58:59], v[66:67] op_sel_hi:[0,1]
	v_fma_f32 v65, v63, s4, -v64
	v_rndne_f32_e32 v66, v64
	v_fmac_f32_e32 v65, 0x32a5705f, v63
	v_sub_f32_e32 v64, v64, v66
	v_pk_fma_f32 v[26:27], v[30:31], v[26:27], v[28:29]
	v_mul_f32_e32 v29, 0x3fb8aa3b, v62
	v_add_f32_e32 v64, v64, v65
	v_fma_f32 v30, v62, s4, -v29
	v_rndne_f32_e32 v31, v29
	v_exp_f32_e32 v64, v64
	v_cvt_i32_f32_e32 v65, v66
	v_fmac_f32_e32 v30, 0x32a5705f, v62
	v_sub_f32_e32 v29, v29, v31
	v_add_f32_e32 v29, v29, v30
	v_exp_f32_e32 v30, v29
	v_cvt_i32_f32_e32 v31, v31
	v_ldexp_f32 v28, v64, v65
	v_cmp_ngt_f32_e64 s[0:1], s2, v63
	v_cndmask_b32_e64 v28, 0, v28, s[0:1]
	v_cmp_nlt_f32_e64 s[0:1], s3, v63
	v_cndmask_b32_e64 v29, v60, v28, s[0:1]
	v_ldexp_f32 v28, v30, v31
	v_cmp_ngt_f32_e64 s[0:1], s2, v62
	v_cndmask_b32_e64 v28, 0, v28, s[0:1]
	v_cmp_nlt_f32_e64 s[0:1], s3, v62
	v_pk_mul_f32 v[62:63], v[56:57], v[6:7] op_sel_hi:[0,1]
	v_mul_f32_e32 v64, 0x3fb8aa3b, v63
	v_cndmask_b32_e64 v28, v60, v28, s[0:1]
	v_pk_mul_f32 v[30:31], v[58:59], v[68:69] op_sel_hi:[0,1]
	v_fma_f32 v65, v63, s4, -v64
	v_rndne_f32_e32 v66, v64
	v_fmac_f32_e32 v65, 0x32a5705f, v63
	v_sub_f32_e32 v64, v64, v66
	v_pk_fma_f32 v[28:29], v[32:33], v[28:29], v[30:31]
	v_mul_f32_e32 v31, 0x3fb8aa3b, v62
	v_add_f32_e32 v64, v64, v65
	v_fma_f32 v32, v62, s4, -v31
	v_rndne_f32_e32 v33, v31
	v_exp_f32_e32 v64, v64
	v_cvt_i32_f32_e32 v65, v66
	v_fmac_f32_e32 v32, 0x32a5705f, v62
	v_sub_f32_e32 v31, v31, v33
	v_add_f32_e32 v31, v31, v32
	v_exp_f32_e32 v32, v31
	v_cvt_i32_f32_e32 v33, v33
	v_ldexp_f32 v30, v64, v65
	v_cmp_ngt_f32_e64 s[0:1], s2, v63
	v_cndmask_b32_e64 v30, 0, v30, s[0:1]
	v_cmp_nlt_f32_e64 s[0:1], s3, v63
	v_cndmask_b32_e64 v31, v60, v30, s[0:1]
	v_ldexp_f32 v30, v32, v33
	v_cmp_ngt_f32_e64 s[0:1], s2, v62
	v_cndmask_b32_e64 v30, 0, v30, s[0:1]
	v_cmp_nlt_f32_e64 s[0:1], s3, v62
	v_cndmask_b32_e64 v30, v60, v30, s[0:1]
	s_waitcnt lgkmcnt(3)
	v_pk_mul_f32 v[22:23], v[58:59], v[22:23] op_sel_hi:[0,1]
	s_waitcnt lgkmcnt(1)
	v_fma_f32 v70, v70, v54, 0
	v_pk_fma_f32 v[22:23], v[40:41], v[30:31], v[22:23]
	v_pk_mul_f32 v[40:41], v[56:57], v[8:9] op_sel_hi:[0,1]
	v_fmac_f32_e32 v70, v71, v55
	v_mul_f32_e32 v30, 0x3fb8aa3b, v41
	v_fmac_f32_e32 v70, v72, v48
	v_rndne_f32_e32 v63, v30
	v_fmac_f32_e32 v70, v73, v49
	v_fma_f32 v62, v41, s4, -v30
	v_sub_f32_e32 v64, v30, v63
	ds_read_b128 v[30:33], v61 offset:96
	s_waitcnt lgkmcnt(1)
	v_fmac_f32_e32 v70, v74, v26
	v_fmac_f32_e32 v62, 0x32a5705f, v41
	;; [unrolled: 1-line block ×3, first 2 shown]
	v_add_f32_e32 v62, v64, v62
	v_fmac_f32_e32 v70, v76, v28
	v_exp_f32_e32 v66, v62
	v_cvt_i32_f32_e32 v67, v63
	ds_read_b128 v[62:65], v61 offset:112
	v_fmac_f32_e32 v70, v77, v29
	s_waitcnt lgkmcnt(1)
	v_fmac_f32_e32 v70, v30, v22
	v_fmac_f32_e32 v70, v31, v23
	v_mul_f32_e32 v31, 0x3fb8aa3b, v40
	v_ldexp_f32 v30, v66, v67
	v_fma_f32 v61, v40, s4, -v31
	v_rndne_f32_e32 v66, v31
	v_fmac_f32_e32 v61, 0x32a5705f, v40
	v_sub_f32_e32 v31, v31, v66
	v_add_f32_e32 v31, v31, v61
	v_exp_f32_e32 v61, v31
	v_cvt_i32_f32_e32 v66, v66
	v_cmp_ngt_f32_e64 s[0:1], s2, v41
	v_cndmask_b32_e64 v30, 0, v30, s[0:1]
	v_cmp_nlt_f32_e64 s[0:1], s3, v41
	v_cndmask_b32_e64 v31, v60, v30, s[0:1]
	v_ldexp_f32 v30, v61, v66
	v_cmp_ngt_f32_e64 s[0:1], s2, v40
	v_cndmask_b32_e64 v30, 0, v30, s[0:1]
	v_cmp_nlt_f32_e64 s[0:1], s3, v40
	v_pk_mul_f32 v[40:41], v[56:57], v[2:3] op_sel_hi:[0,1]
	v_cndmask_b32_e64 v30, v60, v30, s[0:1]
	v_pk_mul_f32 v[24:25], v[58:59], v[24:25] op_sel_hi:[0,1]
	v_mul_f32_e32 v61, 0x3fb8aa3b, v41
	v_fma_f32 v66, v41, s4, -v61
	v_rndne_f32_e32 v67, v61
	v_pk_fma_f32 v[30:31], v[42:43], v[30:31], v[24:25]
	v_fmac_f32_e32 v66, 0x32a5705f, v41
	v_sub_f32_e32 v61, v61, v67
	v_fmac_f32_e32 v70, v32, v30
	v_mul_f32_e32 v25, 0x3fb8aa3b, v40
	v_add_f32_e32 v61, v61, v66
	v_fmac_f32_e32 v70, v33, v31
	v_fma_f32 v32, v40, s4, -v25
	v_rndne_f32_e32 v33, v25
	v_exp_f32_e32 v61, v61
	v_cvt_i32_f32_e32 v66, v67
	v_fmac_f32_e32 v32, 0x32a5705f, v40
	v_sub_f32_e32 v25, v25, v33
	v_add_f32_e32 v25, v25, v32
	v_exp_f32_e32 v32, v25
	v_cvt_i32_f32_e32 v33, v33
	v_ldexp_f32 v24, v61, v66
	v_cmp_ngt_f32_e64 s[0:1], s2, v41
	v_cndmask_b32_e64 v24, 0, v24, s[0:1]
	v_cmp_nlt_f32_e64 s[0:1], s3, v41
	v_cndmask_b32_e64 v25, v60, v24, s[0:1]
	v_ldexp_f32 v24, v32, v33
	v_cmp_ngt_f32_e64 s[0:1], s2, v40
	v_pk_mul_f32 v[32:33], v[56:57], v[4:5] op_sel_hi:[0,1]
	v_cndmask_b32_e64 v24, 0, v24, s[0:1]
	v_cmp_nlt_f32_e64 s[0:1], s3, v40
	v_mul_f32_e32 v40, 0x3fb8aa3b, v33
	v_fma_f32 v41, v33, s4, -v40
	v_rndne_f32_e32 v42, v40
	v_fmac_f32_e32 v41, 0x32a5705f, v33
	v_sub_f32_e32 v40, v40, v42
	v_add_f32_e32 v40, v40, v41
	v_exp_f32_e32 v40, v40
	v_cvt_i32_f32_e32 v41, v42
	v_cndmask_b32_e64 v24, v60, v24, s[0:1]
	v_pk_mul_f32 v[18:19], v[58:59], v[18:19] op_sel_hi:[0,1]
	v_pk_fma_f32 v[24:25], v[44:45], v[24:25], v[18:19]
	v_mul_f32_e32 v19, 0x3fb8aa3b, v32
	v_ldexp_f32 v18, v40, v41
	v_fma_f32 v40, v32, s4, -v19
	v_rndne_f32_e32 v41, v19
	v_fmac_f32_e32 v40, 0x32a5705f, v32
	v_sub_f32_e32 v19, v19, v41
	v_add_f32_e32 v19, v19, v40
	v_exp_f32_e32 v40, v19
	v_cvt_i32_f32_e32 v41, v41
	v_cmp_ngt_f32_e64 s[0:1], s2, v33
	v_cndmask_b32_e64 v18, 0, v18, s[0:1]
	v_cmp_nlt_f32_e64 s[0:1], s3, v33
	v_cndmask_b32_e64 v19, v60, v18, s[0:1]
	v_ldexp_f32 v18, v40, v41
	v_cmp_ngt_f32_e64 s[0:1], s2, v32
	v_cndmask_b32_e64 v18, 0, v18, s[0:1]
	v_cmp_nlt_f32_e64 s[0:1], s3, v32
	s_waitcnt lgkmcnt(0)
	v_fmac_f32_e32 v70, v62, v24
	v_cndmask_b32_e64 v18, v60, v18, s[0:1]
	v_pk_mul_f32 v[20:21], v[58:59], v[20:21] op_sel_hi:[0,1]
	v_fmac_f32_e32 v70, v63, v25
	v_pk_fma_f32 v[20:21], v[46:47], v[18:19], v[20:21]
	s_ashr_i64 s[0:1], s[26:27], 29
	v_fmac_f32_e32 v70, v64, v20
	v_mov_b32_e32 v19, s1
	v_add_co_u32_e64 v18, s[0:1], s0, v38
	v_fmac_f32_e32 v70, v65, v21
	v_addc_co_u32_e64 v19, s[0:1], v39, v19, s[0:1]
	global_store_dword v[18:19], v70, off
	s_barrier
	s_and_saveexec_b64 s[0:1], vcc
	s_cbranch_execz .LBB5_14
; %bb.13:
	v_mad_i64_i32 v[0:1], s[2:3], s8, 12, v[0:1]
	global_load_dword v18, v[0:1], off
	v_mad_i64_i32 v[0:1], s[2:3], s10, 12, v[36:37]
	global_load_dword v0, v[0:1], off
	s_waitcnt vmcnt(1)
	ds_write_b32 v57, v18
	s_waitcnt vmcnt(0)
	ds_write_b32 v59, v0
.LBB5_14:
	s_or_b64 exec, exec, s[0:1]
	v_mov_b32_e32 v1, s19
	v_add_co_u32_e32 v0, vcc, s18, v52
	v_addc_co_u32_e32 v1, vcc, v53, v1, vcc
	s_waitcnt lgkmcnt(0)
	s_barrier
	global_load_dword v18, v[0:1], off
	s_mov_b32 s0, 0x41a00000
	s_waitcnt vmcnt(0)
	v_cmp_ge_f32_e32 vcc, s0, v18
	s_and_saveexec_b64 s[2:3], vcc
	s_cbranch_execz .LBB5_16
; %bb.15:
	v_mul_f32_e32 v0, 0x3fb8aa3b, v18
	s_mov_b32 s0, 0x3fb8aa3b
	v_rndne_f32_e32 v1, v0
	v_sub_f32_e32 v19, v0, v1
	v_fma_f32 v0, v18, s0, -v0
	v_fmac_f32_e32 v0, 0x32a5705f, v18
	v_add_f32_e32 v0, v19, v0
	v_exp_f32_e32 v0, v0
	v_cvt_i32_f32_e32 v1, v1
	s_mov_b32 s0, 0xc2ce8ed0
	v_cmp_ngt_f32_e32 vcc, s0, v18
	s_mov_b32 s0, 0x42b17218
	v_ldexp_f32 v0, v0, v1
	v_cndmask_b32_e32 v0, 0, v0, vcc
	v_mov_b32_e32 v1, 0x7f800000
	v_cmp_nlt_f32_e32 vcc, s0, v18
	v_cndmask_b32_e32 v52, v1, v0, vcc
	v_add_f32_e32 v18, 1.0, v52
	v_add_f32_e32 v0, -1.0, v18
	v_sub_f32_e32 v1, v0, v18
	v_add_f32_e32 v1, 1.0, v1
	v_sub_f32_e32 v0, v52, v0
	v_add_f32_e32 v19, v0, v1
	v_frexp_mant_f32_e32 v32, v18
	s_mov_b32 s0, 0x3f2aaaab
	v_cvt_f64_f32_e32 v[0:1], v18
	v_frexp_exp_i32_f64_e32 v0, v[0:1]
	v_cmp_gt_f32_e32 vcc, s0, v32
	v_subbrev_co_u32_e32 v40, vcc, 0, v0, vcc
	v_sub_u32_e32 v0, 0, v40
	v_ldexp_f32 v1, v18, v0
	v_add_f32_e32 v18, -1.0, v1
	v_add_f32_e32 v32, 1.0, v1
	v_ldexp_f32 v0, v19, v0
	v_add_f32_e32 v19, 1.0, v18
	v_add_f32_e32 v33, -1.0, v32
	v_sub_f32_e32 v19, v1, v19
	v_sub_f32_e32 v1, v1, v33
	v_add_f32_e32 v19, v0, v19
	v_add_f32_e32 v0, v0, v1
	;; [unrolled: 1-line block ×3, first 2 shown]
	v_rcp_f32_e32 v43, v41
	v_sub_f32_e32 v1, v32, v41
	v_add_f32_e32 v42, v0, v1
	v_add_f32_e32 v1, v18, v19
	v_mul_f32_e32 v45, v1, v43
	v_sub_f32_e32 v0, v18, v1
	v_mul_f32_e32 v18, v41, v45
	v_fma_f32 v32, v45, v41, -v18
	v_fmac_f32_e32 v32, v45, v42
	v_add_f32_e32 v44, v19, v0
	v_add_f32_e32 v0, v18, v32
	v_sub_f32_e32 v19, v1, v0
	v_pk_add_f32 v[36:37], v[0:1], v[18:19] neg_lo:[0,1] neg_hi:[0,1]
	v_mov_b32_e32 v33, v0
	v_pk_add_f32 v[0:1], v[36:37], v[32:33] neg_lo:[0,1] neg_hi:[0,1]
	v_add_f32_e32 v1, v44, v1
	v_add_f32_e32 v0, v0, v1
	;; [unrolled: 1-line block ×3, first 2 shown]
	v_mul_f32_e32 v44, v43, v1
	v_mul_f32_e32 v18, v41, v44
	v_fma_f32 v32, v44, v41, -v18
	v_fmac_f32_e32 v32, v44, v42
	v_sub_f32_e32 v19, v19, v1
	v_add_f32_e32 v41, v0, v19
	v_add_f32_e32 v0, v18, v32
	v_sub_f32_e32 v19, v1, v0
	v_pk_add_f32 v[36:37], v[0:1], v[18:19] neg_lo:[0,1] neg_hi:[0,1]
	v_mov_b32_e32 v33, v0
	v_pk_add_f32 v[0:1], v[36:37], v[32:33] neg_lo:[0,1] neg_hi:[0,1]
	v_add_f32_e32 v1, v41, v1
	v_add_f32_e32 v0, v0, v1
	;; [unrolled: 1-line block ×4, first 2 shown]
	v_sub_f32_e32 v1, v19, v45
	v_mul_f32_e32 v0, v43, v0
	v_sub_f32_e32 v1, v44, v1
	v_add_f32_e32 v0, v1, v0
	v_add_f32_e32 v32, v19, v0
	v_mul_f32_e32 v36, v32, v32
	v_mov_b32_e32 v18, 0x3ecc95a3
	v_fmac_f32_e32 v18, 0x3e9b6dac, v36
	v_mov_b32_e32 v1, 0x3f2aaada
	v_fmac_f32_e32 v1, v36, v18
	v_cvt_f32_i32_e32 v18, v40
	v_sub_f32_e32 v19, v32, v19
	v_sub_f32_e32 v0, v0, v19
	v_ldexp_f32 v37, v0, 1
	v_mul_f32_e32 v19, v32, v36
	v_mov_b32_e32 v0, 0x3f317218
	s_mov_b32 s0, 0x3f317218
	v_pk_mul_f32 v[0:1], v[18:19], v[0:1]
	v_ldexp_f32 v33, v32, 1
	v_fma_f32 v32, v18, s0, -v0
	v_fmac_f32_e32 v32, 0xb102e308, v18
	v_pk_add_f32 v[18:19], v[0:1], v[32:33]
	v_sub_f32_e32 v33, v19, v33
	v_sub_f32_e32 v33, v1, v33
	v_add_f32_e32 v37, v37, v33
	v_mov_b32_e32 v36, v0
	v_pk_add_f32 v[0:1], v[18:19], v[0:1] neg_lo:[0,1] neg_hi:[0,1]
	v_pk_add_f32 v[40:41], v[18:19], v[36:37]
	v_mov_b32_e32 v1, v41
	v_mov_b32_e32 v33, v18
	v_pk_add_f32 v[42:43], v[32:33], v[0:1] neg_lo:[0,1] neg_hi:[0,1]
	v_pk_add_f32 v[0:1], v[32:33], v[0:1]
	v_mov_b32_e32 v32, v1
	v_pk_add_f32 v[44:45], v[32:33], v[18:19] neg_lo:[0,1] neg_hi:[0,1]
	v_mov_b32_e32 v33, v44
	v_pk_add_f32 v[46:47], v[40:41], v[32:33] neg_lo:[0,1] neg_hi:[0,1]
	v_mov_b32_e32 v0, v41
	v_mov_b32_e32 v40, v19
	;; [unrolled: 1-line block ×4, first 2 shown]
	v_pk_add_f32 v[0:1], v[0:1], v[40:41] neg_lo:[0,1] neg_hi:[0,1]
	v_mov_b32_e32 v36, v37
	v_mov_b32_e32 v37, v18
	v_pk_add_f32 v[0:1], v[36:37], v[0:1] neg_lo:[0,1] neg_hi:[0,1]
	v_mov_b32_e32 v46, v42
	v_pk_add_f32 v[18:19], v[46:47], v[0:1]
	v_mov_b32_e32 v36, v19
	v_pk_add_f32 v[36:37], v[18:19], v[36:37]
	v_pk_add_f32 v[32:33], v[32:33], v[36:37]
	v_mov_b32_e32 v19, v32
	v_pk_add_f32 v[40:41], v[18:19], v[42:43] neg_lo:[0,1] neg_hi:[0,1]
	v_mov_b32_e32 v1, v36
	v_sub_f32_e32 v18, v18, v40
	v_pk_add_f32 v[0:1], v[0:1], v[40:41] neg_lo:[0,1] neg_hi:[0,1]
	v_sub_f32_e32 v18, v42, v18
	s_mov_b32 s1, 0x7f800000
	v_add_f32_e32 v0, v0, v18
	s_mov_b32 s0, 0x33800000
	v_add_f32_e32 v0, v0, v1
	v_cmp_eq_f32_e32 vcc, s1, v52
	v_cmp_gt_f32_e64 s[0:1], s0, v52
	v_add_f32_e32 v0, v32, v0
	s_or_b64 vcc, s[0:1], vcc
	v_cndmask_b32_e32 v18, v0, v52, vcc
.LBB5_16:
	s_or_b64 exec, exec, s[2:3]
	v_mov_b32_e32 v1, s21
	v_add_co_u32_e32 v0, vcc, s20, v50
	v_addc_co_u32_e32 v1, vcc, v51, v1, vcc
	global_load_dword v19, v[0:1], off
	s_add_u32 s3, s22, s12
	v_mad_i64_i32 v[32:33], s[0:1], s16, 12, v[38:39]
	s_mov_b32 s2, 0x3fb8aa3b
	s_mul_i32 s4, s6, s25
	s_addc_u32 s5, s23, s13
	s_add_u32 s3, s3, s4
	s_addc_u32 s4, s5, 0
	s_add_u32 s3, s3, s34
	s_addc_u32 s4, s4, s33
	v_add_co_u32_e32 v34, vcc, s3, v34
	s_mov_b32 s0, 0xc2ce8ed0
	s_mov_b32 s1, 0x42b17218
	v_mov_b32_e32 v39, 0x7f800000
	v_mov_b32_e32 v66, 0
	s_waitcnt vmcnt(0)
	v_pk_mul_f32 v[52:53], v[18:19], v[14:15] op_sel_hi:[0,1]
	v_mul_f32_e32 v38, 0x3fb8aa3b, v53
	v_mul_f32_e32 v64, 0x3fb8aa3b, v52
	v_fma_f32 v68, v53, s2, -v38
	v_rndne_f32_e32 v69, v38
	v_fma_f32 v70, v52, s2, -v64
	v_rndne_f32_e32 v71, v64
	v_fmac_f32_e32 v68, 0x32a5705f, v53
	v_sub_f32_e32 v38, v38, v69
	v_pk_mul_f32 v[16:17], v[18:19], v[16:17] op_sel_hi:[0,1]
	v_fmac_f32_e32 v70, 0x32a5705f, v52
	v_sub_f32_e32 v64, v64, v71
	v_add_f32_e32 v38, v38, v68
	v_mul_f32_e32 v65, 0x3fb8aa3b, v17
	v_cvt_i32_f32_e32 v69, v69
	v_add_f32_e32 v64, v64, v70
	v_exp_f32_e32 v38, v38
	v_fma_f32 v72, v17, s2, -v65
	v_rndne_f32_e32 v73, v65
	v_cvt_i32_f32_e32 v71, v71
	v_exp_f32_e32 v64, v64
	v_mul_f32_e32 v67, 0x3fb8aa3b, v16
	v_fmac_f32_e32 v72, 0x32a5705f, v17
	v_sub_f32_e32 v65, v65, v73
	v_mov_b32_e32 v68, s4
	v_fma_f32 v74, v16, s2, -v67
	v_rndne_f32_e32 v75, v67
	v_add_f32_e32 v65, v65, v72
	v_addc_co_u32_e32 v35, vcc, v68, v35, vcc
	v_cvt_i32_f32_e32 v73, v73
	v_fmac_f32_e32 v74, 0x32a5705f, v16
	v_sub_f32_e32 v67, v67, v75
	v_exp_f32_e32 v65, v65
	v_ldexp_f32 v38, v38, v69
	v_cmp_ngt_f32_e32 vcc, s0, v53
	v_add_f32_e32 v67, v67, v74
	v_ldexp_f32 v64, v64, v71
	v_cndmask_b32_e32 v38, 0, v38, vcc
	v_cmp_ngt_f32_e32 vcc, s0, v52
	v_cvt_i32_f32_e32 v75, v75
	v_exp_f32_e32 v67, v67
	v_cndmask_b32_e32 v64, 0, v64, vcc
	v_cmp_nlt_f32_e32 vcc, s1, v53
	v_cndmask_b32_e32 v53, v39, v38, vcc
	v_cmp_nlt_f32_e32 vcc, s1, v52
	v_pk_mul_f32 v[50:51], v[18:19], v[10:11] op_sel_hi:[0,1]
	v_pk_mul_f32 v[46:47], v[18:19], v[12:13] op_sel_hi:[0,1]
	;; [unrolled: 1-line block ×6, first 2 shown]
	ds_read_b128 v[56:59], v66 offset:64
	ds_read_b128 v[8:11], v66 offset:80
	;; [unrolled: 1-line block ×4, first 2 shown]
	ds_read_b128 v[12:15], v66
	ds_read_b128 v[60:63], v66 offset:16
	v_ldexp_f32 v65, v65, v73
	v_cndmask_b32_e32 v52, v39, v64, vcc
	v_cmp_ngt_f32_e32 vcc, s0, v17
	v_mul_f32_e32 v38, v18, v19
	v_cndmask_b32_e32 v18, 0, v65, vcc
	v_cmp_nlt_f32_e32 vcc, s1, v17
	v_ldexp_f32 v19, v67, v75
	v_cndmask_b32_e32 v65, v39, v18, vcc
	v_cmp_ngt_f32_e32 vcc, s0, v16
	v_cndmask_b32_e32 v17, 0, v19, vcc
	v_cmp_nlt_f32_e32 vcc, s1, v16
	v_cndmask_b32_e32 v64, v39, v17, vcc
	s_waitcnt lgkmcnt(1)
	v_pk_mul_f32 v[14:15], v[38:39], v[14:15] op_sel_hi:[0,1]
	v_pk_fma_f32 v[14:15], v[48:49], v[64:65], v[14:15]
	v_mul_f32_e32 v48, 0x3fb8aa3b, v51
	v_fma_f32 v49, v51, s2, -v48
	v_rndne_f32_e32 v64, v48
	v_fmac_f32_e32 v49, 0x32a5705f, v51
	v_sub_f32_e32 v48, v48, v64
	v_add_f32_e32 v48, v48, v49
	v_exp_f32_e32 v48, v48
	v_cvt_i32_f32_e32 v49, v64
	v_pk_mul_f32 v[12:13], v[38:39], v[12:13] op_sel_hi:[0,1]
	v_pk_fma_f32 v[12:13], v[54:55], v[52:53], v[12:13]
	v_fma_f32 v56, v56, v12, 0
	v_fmac_f32_e32 v56, v57, v13
	v_ldexp_f32 v48, v48, v49
	v_mul_f32_e32 v49, 0x3fb8aa3b, v50
	v_fmac_f32_e32 v56, v58, v14
	v_fma_f32 v57, v50, s2, -v49
	v_rndne_f32_e32 v58, v49
	v_fmac_f32_e32 v57, 0x32a5705f, v50
	v_sub_f32_e32 v49, v49, v58
	v_add_f32_e32 v49, v49, v57
	v_exp_f32_e32 v57, v49
	v_cvt_i32_f32_e32 v58, v58
	v_cmp_ngt_f32_e32 vcc, s0, v51
	v_cndmask_b32_e32 v48, 0, v48, vcc
	v_cmp_nlt_f32_e32 vcc, s1, v51
	v_cndmask_b32_e32 v49, v39, v48, vcc
	v_ldexp_f32 v48, v57, v58
	v_cmp_ngt_f32_e32 vcc, s0, v50
	v_cndmask_b32_e32 v48, 0, v48, vcc
	v_cmp_nlt_f32_e32 vcc, s1, v50
	v_cndmask_b32_e32 v48, v39, v48, vcc
	s_waitcnt lgkmcnt(0)
	v_pk_mul_f32 v[50:51], v[38:39], v[60:61] op_sel_hi:[0,1]
	v_fmac_f32_e32 v56, v59, v15
	v_mul_f32_e32 v57, 0x3fb8aa3b, v47
	v_pk_fma_f32 v[26:27], v[26:27], v[48:49], v[50:51]
	v_fma_f32 v58, v47, s2, -v57
	v_rndne_f32_e32 v59, v57
	v_fmac_f32_e32 v56, v8, v26
	v_fmac_f32_e32 v58, 0x32a5705f, v47
	v_sub_f32_e32 v57, v57, v59
	v_fmac_f32_e32 v56, v9, v27
	v_mul_f32_e32 v9, 0x3fb8aa3b, v46
	v_add_f32_e32 v57, v57, v58
	v_fma_f32 v48, v46, s2, -v9
	v_rndne_f32_e32 v49, v9
	v_exp_f32_e32 v57, v57
	v_cvt_i32_f32_e32 v58, v59
	v_fmac_f32_e32 v48, 0x32a5705f, v46
	v_sub_f32_e32 v9, v9, v49
	v_add_f32_e32 v9, v9, v48
	v_exp_f32_e32 v48, v9
	v_cvt_i32_f32_e32 v49, v49
	v_ldexp_f32 v8, v57, v58
	v_cmp_ngt_f32_e32 vcc, s0, v47
	v_cndmask_b32_e32 v8, 0, v8, vcc
	v_cmp_nlt_f32_e32 vcc, s1, v47
	v_cndmask_b32_e32 v9, v39, v8, vcc
	v_ldexp_f32 v8, v48, v49
	v_cmp_ngt_f32_e32 vcc, s0, v46
	v_cndmask_b32_e32 v8, 0, v8, vcc
	v_cmp_nlt_f32_e32 vcc, s1, v46
	v_cndmask_b32_e32 v8, v39, v8, vcc
	v_pk_mul_f32 v[46:47], v[38:39], v[62:63] op_sel_hi:[0,1]
	v_mul_f32_e32 v48, 0x3fb8aa3b, v45
	v_fma_f32 v49, v45, s2, -v48
	v_rndne_f32_e32 v50, v48
	v_pk_fma_f32 v[28:29], v[28:29], v[8:9], v[46:47]
	v_fmac_f32_e32 v49, 0x32a5705f, v45
	v_sub_f32_e32 v48, v48, v50
	v_fmac_f32_e32 v56, v10, v28
	v_mul_f32_e32 v9, 0x3fb8aa3b, v44
	v_add_f32_e32 v48, v48, v49
	v_fmac_f32_e32 v56, v11, v29
	v_fma_f32 v10, v44, s2, -v9
	v_rndne_f32_e32 v11, v9
	v_exp_f32_e32 v48, v48
	v_cvt_i32_f32_e32 v49, v50
	v_fmac_f32_e32 v10, 0x32a5705f, v44
	v_sub_f32_e32 v9, v9, v11
	v_add_f32_e32 v9, v9, v10
	v_exp_f32_e32 v10, v9
	v_cvt_i32_f32_e32 v11, v11
	ds_read_b128 v[52:55], v66 offset:32
	ds_read_b128 v[16:19], v66 offset:48
	v_ldexp_f32 v8, v48, v49
	v_cmp_ngt_f32_e32 vcc, s0, v45
	v_cndmask_b32_e32 v8, 0, v8, vcc
	v_cmp_nlt_f32_e32 vcc, s1, v45
	v_cndmask_b32_e32 v9, v39, v8, vcc
	v_ldexp_f32 v8, v10, v11
	v_cmp_ngt_f32_e32 vcc, s0, v44
	v_cndmask_b32_e32 v8, 0, v8, vcc
	v_cmp_nlt_f32_e32 vcc, s1, v44
	v_cndmask_b32_e32 v8, v39, v8, vcc
	s_waitcnt lgkmcnt(1)
	v_pk_mul_f32 v[10:11], v[38:39], v[52:53] op_sel_hi:[0,1]
	v_mul_f32_e32 v44, 0x3fb8aa3b, v43
	v_pk_fma_f32 v[8:9], v[22:23], v[8:9], v[10:11]
	v_fma_f32 v45, v43, s2, -v44
	v_rndne_f32_e32 v46, v44
	v_fmac_f32_e32 v56, v4, v8
	v_fmac_f32_e32 v45, 0x32a5705f, v43
	v_sub_f32_e32 v44, v44, v46
	v_fmac_f32_e32 v56, v5, v9
	v_mul_f32_e32 v5, 0x3fb8aa3b, v42
	v_add_f32_e32 v44, v44, v45
	v_fma_f32 v10, v42, s2, -v5
	v_rndne_f32_e32 v11, v5
	v_exp_f32_e32 v44, v44
	v_cvt_i32_f32_e32 v45, v46
	v_fmac_f32_e32 v10, 0x32a5705f, v42
	v_sub_f32_e32 v5, v5, v11
	v_add_f32_e32 v5, v5, v10
	v_exp_f32_e32 v10, v5
	v_cvt_i32_f32_e32 v11, v11
	v_ldexp_f32 v4, v44, v45
	v_cmp_ngt_f32_e32 vcc, s0, v43
	v_cndmask_b32_e32 v4, 0, v4, vcc
	v_cmp_nlt_f32_e32 vcc, s1, v43
	v_cndmask_b32_e32 v5, v39, v4, vcc
	v_ldexp_f32 v4, v10, v11
	v_cmp_ngt_f32_e32 vcc, s0, v42
	v_cndmask_b32_e32 v4, 0, v4, vcc
	v_cmp_nlt_f32_e32 vcc, s1, v42
	v_cndmask_b32_e32 v4, v39, v4, vcc
	v_pk_mul_f32 v[10:11], v[38:39], v[54:55] op_sel_hi:[0,1]
	v_mul_f32_e32 v22, 0x3fb8aa3b, v41
	v_fma_f32 v23, v41, s2, -v22
	v_rndne_f32_e32 v42, v22
	v_pk_fma_f32 v[10:11], v[30:31], v[4:5], v[10:11]
	v_fmac_f32_e32 v23, 0x32a5705f, v41
	v_sub_f32_e32 v22, v22, v42
	v_fmac_f32_e32 v56, v6, v10
	v_mul_f32_e32 v5, 0x3fb8aa3b, v40
	v_add_f32_e32 v22, v22, v23
	v_fmac_f32_e32 v56, v7, v11
	v_fma_f32 v6, v40, s2, -v5
	v_rndne_f32_e32 v7, v5
	v_exp_f32_e32 v22, v22
	v_cvt_i32_f32_e32 v23, v42
	v_fmac_f32_e32 v6, 0x32a5705f, v40
	v_sub_f32_e32 v5, v5, v7
	v_add_f32_e32 v5, v5, v6
	v_exp_f32_e32 v6, v5
	v_cvt_i32_f32_e32 v7, v7
	v_ldexp_f32 v4, v22, v23
	v_cmp_ngt_f32_e32 vcc, s0, v41
	v_cndmask_b32_e32 v4, 0, v4, vcc
	v_cmp_nlt_f32_e32 vcc, s1, v41
	v_cndmask_b32_e32 v5, v39, v4, vcc
	v_ldexp_f32 v4, v6, v7
	v_cmp_ngt_f32_e32 vcc, s0, v40
	v_cndmask_b32_e32 v4, 0, v4, vcc
	v_cmp_nlt_f32_e32 vcc, s1, v40
	v_cndmask_b32_e32 v4, v39, v4, vcc
	s_waitcnt lgkmcnt(0)
	v_pk_mul_f32 v[6:7], v[38:39], v[16:17] op_sel_hi:[0,1]
	v_mul_f32_e32 v16, 0x3fb8aa3b, v37
	v_pk_fma_f32 v[4:5], v[24:25], v[4:5], v[6:7]
	v_fma_f32 v17, v37, s2, -v16
	v_rndne_f32_e32 v22, v16
	v_fmac_f32_e32 v56, v0, v4
	v_fmac_f32_e32 v17, 0x32a5705f, v37
	v_sub_f32_e32 v16, v16, v22
	v_fmac_f32_e32 v56, v1, v5
	v_mul_f32_e32 v1, 0x3fb8aa3b, v36
	v_add_f32_e32 v16, v16, v17
	v_fma_f32 v6, v36, s2, -v1
	v_rndne_f32_e32 v7, v1
	v_exp_f32_e32 v16, v16
	v_cvt_i32_f32_e32 v17, v22
	v_fmac_f32_e32 v6, 0x32a5705f, v36
	v_sub_f32_e32 v1, v1, v7
	v_add_f32_e32 v1, v1, v6
	v_exp_f32_e32 v6, v1
	v_cvt_i32_f32_e32 v7, v7
	v_ldexp_f32 v0, v16, v17
	v_cmp_ngt_f32_e32 vcc, s0, v37
	v_cndmask_b32_e32 v0, 0, v0, vcc
	v_cmp_nlt_f32_e32 vcc, s1, v37
	v_cndmask_b32_e32 v1, v39, v0, vcc
	v_ldexp_f32 v0, v6, v7
	v_cmp_ngt_f32_e32 vcc, s0, v36
	v_cndmask_b32_e32 v0, 0, v0, vcc
	v_cmp_nlt_f32_e32 vcc, s1, v36
	v_cndmask_b32_e32 v0, v39, v0, vcc
	v_pk_mul_f32 v[6:7], v[38:39], v[18:19] op_sel_hi:[0,1]
	v_pk_fma_f32 v[6:7], v[20:21], v[0:1], v[6:7]
	v_fmac_f32_e32 v56, v2, v6
	v_fmac_f32_e32 v56, v3, v7
	global_store_dword v[32:33], v56, off
	s_barrier
	global_store_dwordx4 v[34:35], v[12:15], off
	global_store_dwordx4 v[34:35], v[26:29], off offset:16
	global_store_dwordx4 v[34:35], v[8:11], off offset:32
	;; [unrolled: 1-line block ×3, first 2 shown]
	s_endpgm
	.section	.rodata,"a",@progbits
	.p2align	6, 0x0
	.amdhsa_kernel _Z12ssm_scan_f32ILm128ELm16ELm4EEvPKfS1_S1_S1_S1_S1_PKiPfiiiiiiiiiiilll
		.amdhsa_group_segment_fixed_size 128
		.amdhsa_private_segment_fixed_size 0
		.amdhsa_kernarg_size 136
		.amdhsa_user_sgpr_count 6
		.amdhsa_user_sgpr_private_segment_buffer 1
		.amdhsa_user_sgpr_dispatch_ptr 0
		.amdhsa_user_sgpr_queue_ptr 0
		.amdhsa_user_sgpr_kernarg_segment_ptr 1
		.amdhsa_user_sgpr_dispatch_id 0
		.amdhsa_user_sgpr_flat_scratch_init 0
		.amdhsa_user_sgpr_kernarg_preload_length 0
		.amdhsa_user_sgpr_kernarg_preload_offset 0
		.amdhsa_user_sgpr_private_segment_size 0
		.amdhsa_uses_dynamic_stack 0
		.amdhsa_system_sgpr_private_segment_wavefront_offset 0
		.amdhsa_system_sgpr_workgroup_id_x 1
		.amdhsa_system_sgpr_workgroup_id_y 1
		.amdhsa_system_sgpr_workgroup_id_z 0
		.amdhsa_system_sgpr_workgroup_info 0
		.amdhsa_system_vgpr_workitem_id 0
		.amdhsa_next_free_vgpr 95
		.amdhsa_next_free_sgpr 40
		.amdhsa_accum_offset 96
		.amdhsa_reserve_vcc 1
		.amdhsa_reserve_flat_scratch 0
		.amdhsa_float_round_mode_32 0
		.amdhsa_float_round_mode_16_64 0
		.amdhsa_float_denorm_mode_32 3
		.amdhsa_float_denorm_mode_16_64 3
		.amdhsa_dx10_clamp 1
		.amdhsa_ieee_mode 1
		.amdhsa_fp16_overflow 0
		.amdhsa_tg_split 0
		.amdhsa_exception_fp_ieee_invalid_op 0
		.amdhsa_exception_fp_denorm_src 0
		.amdhsa_exception_fp_ieee_div_zero 0
		.amdhsa_exception_fp_ieee_overflow 0
		.amdhsa_exception_fp_ieee_underflow 0
		.amdhsa_exception_fp_ieee_inexact 0
		.amdhsa_exception_int_div_zero 0
	.end_amdhsa_kernel
	.section	.text._Z12ssm_scan_f32ILm128ELm16ELm4EEvPKfS1_S1_S1_S1_S1_PKiPfiiiiiiiiiiilll,"axG",@progbits,_Z12ssm_scan_f32ILm128ELm16ELm4EEvPKfS1_S1_S1_S1_S1_PKiPfiiiiiiiiiiilll,comdat
.Lfunc_end5:
	.size	_Z12ssm_scan_f32ILm128ELm16ELm4EEvPKfS1_S1_S1_S1_S1_PKiPfiiiiiiiiiiilll, .Lfunc_end5-_Z12ssm_scan_f32ILm128ELm16ELm4EEvPKfS1_S1_S1_S1_S1_PKiPfiiiiiiiiiiilll
                                        ; -- End function
	.section	.AMDGPU.csdata,"",@progbits
; Kernel info:
; codeLenInByte = 11084
; NumSgprs: 44
; NumVgprs: 95
; NumAgprs: 0
; TotalNumVgprs: 95
; ScratchSize: 0
; MemoryBound: 0
; FloatMode: 240
; IeeeMode: 1
; LDSByteSize: 128 bytes/workgroup (compile time only)
; SGPRBlocks: 5
; VGPRBlocks: 11
; NumSGPRsForWavesPerEU: 44
; NumVGPRsForWavesPerEU: 95
; AccumOffset: 96
; Occupancy: 5
; WaveLimiterHint : 1
; COMPUTE_PGM_RSRC2:SCRATCH_EN: 0
; COMPUTE_PGM_RSRC2:USER_SGPR: 6
; COMPUTE_PGM_RSRC2:TRAP_HANDLER: 0
; COMPUTE_PGM_RSRC2:TGID_X_EN: 1
; COMPUTE_PGM_RSRC2:TGID_Y_EN: 1
; COMPUTE_PGM_RSRC2:TGID_Z_EN: 0
; COMPUTE_PGM_RSRC2:TIDIG_COMP_CNT: 0
; COMPUTE_PGM_RSRC3_GFX90A:ACCUM_OFFSET: 23
; COMPUTE_PGM_RSRC3_GFX90A:TG_SPLIT: 0
	.section	.text._Z12ssm_scan_f32ILm128ELm16ELm5EEvPKfS1_S1_S1_S1_S1_PKiPfiiiiiiiiiiilll,"axG",@progbits,_Z12ssm_scan_f32ILm128ELm16ELm5EEvPKfS1_S1_S1_S1_S1_PKiPfiiiiiiiiiiilll,comdat
	.protected	_Z12ssm_scan_f32ILm128ELm16ELm5EEvPKfS1_S1_S1_S1_S1_PKiPfiiiiiiiiiiilll ; -- Begin function _Z12ssm_scan_f32ILm128ELm16ELm5EEvPKfS1_S1_S1_S1_S1_PKiPfiiiiiiiiiiilll
	.globl	_Z12ssm_scan_f32ILm128ELm16ELm5EEvPKfS1_S1_S1_S1_S1_PKiPfiiiiiiiiiiilll
	.p2align	8
	.type	_Z12ssm_scan_f32ILm128ELm16ELm5EEvPKfS1_S1_S1_S1_S1_PKiPfiiiiiiiiiiilll,@function
_Z12ssm_scan_f32ILm128ELm16ELm5EEvPKfS1_S1_S1_S1_S1_PKiPfiiiiiiiiiiilll: ; @_Z12ssm_scan_f32ILm128ELm16ELm5EEvPKfS1_S1_S1_S1_S1_PKiPfiiiiiiiiiiilll
; %bb.0:
	s_load_dwordx16 s[8:23], s[4:5], 0x0
	s_load_dwordx8 s[24:31], s[4:5], 0x40
	s_mov_b32 s2, s7
	s_mov_b32 s7, 0
	s_lshl_b64 s[0:1], s[6:7], 2
	s_waitcnt lgkmcnt(0)
	s_add_u32 s0, s20, s0
	s_addc_u32 s1, s21, s1
	s_load_dword s0, s[0:1], 0x0
	v_mov_b32_e32 v3, 0
	s_load_dwordx4 s[36:39], s[4:5], 0x60
	v_lshlrev_b32_e32 v59, 2, v0
	v_add_u32_e32 v61, 64, v59
	s_waitcnt lgkmcnt(0)
	s_mul_i32 s0, s0, s25
	s_ashr_i32 s1, s0, 31
	s_add_u32 s0, s8, s0
	s_addc_u32 s1, s9, s1
	s_lshl_b32 s3, s2, 7
	s_ashr_i32 s8, s24, 31
	s_mul_i32 s8, s3, s8
	s_mul_hi_u32 s9, s3, s24
	s_add_i32 s8, s9, s8
	s_lshr_b32 s9, s2, 25
	s_mul_i32 s20, s9, s24
	s_add_i32 s33, s8, s20
	s_mul_i32 s34, s3, s24
	s_add_u32 s0, s0, s34
	s_addc_u32 s1, s1, s33
	s_ashr_i32 s8, s30, 31
	s_mul_i32 s8, s3, s8
	s_mul_hi_u32 s20, s3, s30
	s_add_i32 s8, s20, s8
	s_mul_i32 s9, s9, s30
	s_add_i32 s8, s8, s9
	s_mul_i32 s3, s3, s30
	s_add_u32 s3, s14, s3
	s_addc_u32 s8, s15, s8
	s_ashr_i32 s14, s30, 2
	v_mul_lo_u32 v2, s14, v0
	s_ashr_i32 s9, s24, 2
	v_lshlrev_b64 v[4:5], 2, v[2:3]
	v_mov_b32_e32 v1, s8
	v_add_co_u32_e32 v36, vcc, s3, v4
	v_mul_lo_u32 v2, s9, v0
	v_addc_co_u32_e32 v37, vcc, v1, v5, vcc
	v_lshlrev_b64 v[34:35], 2, v[2:3]
	v_mov_b32_e32 v1, s1
	v_add_co_u32_e32 v38, vcc, s0, v34
	v_addc_co_u32_e32 v39, vcc, v1, v35, vcc
	global_load_dwordx4 v[2:5], v[36:37], off offset:48
	global_load_dwordx4 v[6:9], v[36:37], off offset:32
	;; [unrolled: 1-line block ×3, first 2 shown]
	global_load_dwordx4 v[14:17], v[36:37], off
	global_load_dwordx4 v[18:21], v[38:39], off offset:48
	global_load_dwordx4 v[22:25], v[38:39], off offset:32
	;; [unrolled: 1-line block ×3, first 2 shown]
	global_load_dwordx4 v[30:33], v[38:39], off
	s_mul_i32 s0, s6, s36
	s_add_u32 s0, s16, s0
	s_mov_b32 s3, s7
	s_mul_i32 s1, s6, s38
	s_addc_u32 s7, s17, 0
	s_add_u32 s8, s18, s1
	v_cmp_gt_u32_e32 vcc, 16, v0
	v_mov_b32_e32 v0, s7
	v_add_co_u32_e64 v36, s[0:1], s0, v59
	s_addc_u32 s9, s19, 0
	v_addc_co_u32_e64 v37, s[0:1], 0, v0, s[0:1]
	v_mov_b32_e32 v1, s9
	v_add_co_u32_e64 v0, s[0:1], s8, v59
	v_addc_co_u32_e64 v1, s[0:1], 0, v1, s[0:1]
	s_and_saveexec_b64 s[0:1], vcc
	s_cbranch_execz .LBB6_2
; %bb.1:
	global_load_dword v38, v[36:37], off
	global_load_dword v39, v[0:1], off
	s_waitcnt vmcnt(1)
	ds_write_b32 v59, v38
	s_waitcnt vmcnt(0)
	ds_write_b32 v61, v39
.LBB6_2:
	s_or_b64 exec, exec, s[0:1]
	s_lshl_b64 s[16:17], s[2:3], 9
	s_mul_i32 s0, s6, s29
	s_add_u32 s0, s12, s0
	s_addc_u32 s1, s13, 0
	s_add_u32 s0, s0, s16
	s_addc_u32 s1, s1, s17
	s_waitcnt lgkmcnt(0)
	s_barrier
	global_load_dword v44, v59, s[0:1]
	v_mov_b32_e32 v38, s1
	v_add_co_u32_e64 v48, s[0:1], s0, v59
	v_addc_co_u32_e64 v49, s[0:1], 0, v38, s[0:1]
	s_mov_b32 s0, 0x41a00000
	s_waitcnt vmcnt(0)
	v_cmp_ge_f32_e64 s[0:1], s0, v44
	s_and_saveexec_b64 s[8:9], s[0:1]
	s_cbranch_execz .LBB6_4
; %bb.3:
	v_mul_f32_e32 v38, 0x3fb8aa3b, v44
	s_mov_b32 s0, 0x3fb8aa3b
	v_rndne_f32_e32 v39, v38
	v_sub_f32_e32 v40, v38, v39
	v_fma_f32 v38, v44, s0, -v38
	v_fmac_f32_e32 v38, 0x32a5705f, v44
	v_add_f32_e32 v38, v40, v38
	v_exp_f32_e32 v38, v38
	v_cvt_i32_f32_e32 v39, v39
	s_mov_b32 s0, 0xc2ce8ed0
	v_cmp_ngt_f32_e64 s[0:1], s0, v44
	s_mov_b32 s2, 0x7f800000
	v_ldexp_f32 v38, v38, v39
	v_cndmask_b32_e64 v38, 0, v38, s[0:1]
	s_mov_b32 s0, 0x42b17218
	v_mov_b32_e32 v39, 0x7f800000
	v_cmp_nlt_f32_e64 s[0:1], s0, v44
	v_cndmask_b32_e64 v56, v39, v38, s[0:1]
	v_add_f32_e32 v40, 1.0, v56
	v_add_f32_e32 v38, -1.0, v40
	v_sub_f32_e32 v39, v38, v40
	v_add_f32_e32 v39, 1.0, v39
	v_sub_f32_e32 v38, v56, v38
	v_add_f32_e32 v41, v38, v39
	v_frexp_mant_f32_e32 v42, v40
	s_mov_b32 s0, 0x3f2aaaab
	v_cvt_f64_f32_e32 v[38:39], v40
	v_frexp_exp_i32_f64_e32 v38, v[38:39]
	v_cmp_gt_f32_e64 s[0:1], s0, v42
	v_subbrev_co_u32_e64 v46, s[0:1], 0, v38, s[0:1]
	v_sub_u32_e32 v38, 0, v46
	v_ldexp_f32 v39, v40, v38
	v_add_f32_e32 v40, -1.0, v39
	v_add_f32_e32 v42, 1.0, v39
	v_ldexp_f32 v38, v41, v38
	v_add_f32_e32 v41, 1.0, v40
	v_add_f32_e32 v43, -1.0, v42
	v_sub_f32_e32 v41, v39, v41
	v_sub_f32_e32 v39, v39, v43
	v_add_f32_e32 v41, v38, v41
	v_add_f32_e32 v38, v38, v39
	;; [unrolled: 1-line block ×3, first 2 shown]
	v_rcp_f32_e32 v51, v47
	v_sub_f32_e32 v39, v42, v47
	v_add_f32_e32 v50, v38, v39
	v_add_f32_e32 v39, v40, v41
	v_mul_f32_e32 v53, v39, v51
	v_sub_f32_e32 v38, v40, v39
	v_mul_f32_e32 v40, v47, v53
	v_fma_f32 v42, v53, v47, -v40
	v_fmac_f32_e32 v42, v53, v50
	v_add_f32_e32 v52, v41, v38
	v_add_f32_e32 v38, v40, v42
	v_sub_f32_e32 v41, v39, v38
	v_pk_add_f32 v[44:45], v[38:39], v[40:41] neg_lo:[0,1] neg_hi:[0,1]
	v_mov_b32_e32 v43, v38
	v_pk_add_f32 v[38:39], v[44:45], v[42:43] neg_lo:[0,1] neg_hi:[0,1]
	v_add_f32_e32 v39, v52, v39
	v_add_f32_e32 v38, v38, v39
	v_add_f32_e32 v39, v41, v38
	v_mul_f32_e32 v52, v51, v39
	v_mul_f32_e32 v40, v47, v52
	v_fma_f32 v42, v52, v47, -v40
	v_fmac_f32_e32 v42, v52, v50
	v_sub_f32_e32 v41, v41, v39
	v_add_f32_e32 v47, v38, v41
	v_add_f32_e32 v38, v40, v42
	v_sub_f32_e32 v41, v39, v38
	v_pk_add_f32 v[44:45], v[38:39], v[40:41] neg_lo:[0,1] neg_hi:[0,1]
	v_mov_b32_e32 v43, v38
	v_pk_add_f32 v[38:39], v[44:45], v[42:43] neg_lo:[0,1] neg_hi:[0,1]
	v_add_f32_e32 v39, v47, v39
	v_add_f32_e32 v38, v38, v39
	;; [unrolled: 1-line block ×4, first 2 shown]
	v_sub_f32_e32 v39, v41, v53
	v_mul_f32_e32 v38, v51, v38
	v_sub_f32_e32 v39, v52, v39
	v_add_f32_e32 v38, v39, v38
	v_add_f32_e32 v42, v41, v38
	v_mul_f32_e32 v44, v42, v42
	v_mov_b32_e32 v40, 0x3ecc95a3
	v_fmac_f32_e32 v40, 0x3e9b6dac, v44
	v_mov_b32_e32 v39, 0x3f2aaada
	v_fmac_f32_e32 v39, v44, v40
	v_cvt_f32_i32_e32 v40, v46
	v_sub_f32_e32 v41, v42, v41
	v_sub_f32_e32 v38, v38, v41
	v_ldexp_f32 v45, v38, 1
	v_mul_f32_e32 v41, v42, v44
	v_mov_b32_e32 v38, 0x3f317218
	s_mov_b32 s0, 0x3f317218
	v_pk_mul_f32 v[38:39], v[40:41], v[38:39]
	v_ldexp_f32 v43, v42, 1
	v_fma_f32 v42, v40, s0, -v38
	v_fmac_f32_e32 v42, 0xb102e308, v40
	v_pk_add_f32 v[40:41], v[38:39], v[42:43]
	v_sub_f32_e32 v43, v41, v43
	v_sub_f32_e32 v43, v39, v43
	v_add_f32_e32 v45, v45, v43
	v_mov_b32_e32 v44, v38
	v_pk_add_f32 v[38:39], v[40:41], v[38:39] neg_lo:[0,1] neg_hi:[0,1]
	v_pk_add_f32 v[46:47], v[40:41], v[44:45]
	v_mov_b32_e32 v39, v47
	v_mov_b32_e32 v43, v40
	v_pk_add_f32 v[50:51], v[42:43], v[38:39] neg_lo:[0,1] neg_hi:[0,1]
	v_pk_add_f32 v[38:39], v[42:43], v[38:39]
	v_mov_b32_e32 v42, v39
	v_pk_add_f32 v[52:53], v[42:43], v[40:41] neg_lo:[0,1] neg_hi:[0,1]
	v_mov_b32_e32 v43, v52
	v_pk_add_f32 v[54:55], v[46:47], v[42:43] neg_lo:[0,1] neg_hi:[0,1]
	v_mov_b32_e32 v38, v47
	v_mov_b32_e32 v46, v41
	;; [unrolled: 1-line block ×4, first 2 shown]
	v_pk_add_f32 v[38:39], v[38:39], v[46:47] neg_lo:[0,1] neg_hi:[0,1]
	v_mov_b32_e32 v44, v45
	v_mov_b32_e32 v45, v40
	v_pk_add_f32 v[38:39], v[44:45], v[38:39] neg_lo:[0,1] neg_hi:[0,1]
	v_mov_b32_e32 v54, v50
	v_pk_add_f32 v[40:41], v[54:55], v[38:39]
	v_mov_b32_e32 v44, v41
	v_pk_add_f32 v[44:45], v[40:41], v[44:45]
	v_pk_add_f32 v[42:43], v[42:43], v[44:45]
	v_mov_b32_e32 v41, v42
	v_pk_add_f32 v[46:47], v[40:41], v[50:51] neg_lo:[0,1] neg_hi:[0,1]
	v_mov_b32_e32 v39, v44
	v_sub_f32_e32 v40, v40, v46
	v_pk_add_f32 v[38:39], v[38:39], v[46:47] neg_lo:[0,1] neg_hi:[0,1]
	v_sub_f32_e32 v40, v50, v40
	v_add_f32_e32 v38, v38, v40
	v_cmp_eq_f32_e64 s[0:1], s2, v56
	s_mov_b32 s2, 0x33800000
	v_add_f32_e32 v38, v38, v39
	v_cmp_gt_f32_e64 s[2:3], s2, v56
	v_add_f32_e32 v38, v42, v38
	s_or_b64 s[0:1], s[2:3], s[0:1]
	v_cndmask_b32_e64 v44, v38, v56, s[0:1]
.LBB6_4:
	s_or_b64 exec, exec, s[8:9]
	s_load_dwordx4 s[12:15], s[4:5], 0x70
	s_mul_i32 s0, s6, s27
	s_mov_b32 s19, 0x3fb8aa3b
	s_mov_b32 s7, 0xc2ce8ed0
	v_mov_b32_e32 v58, 0
	s_waitcnt lgkmcnt(0)
	s_mul_i32 s1, s6, s15
	s_mul_hi_u32 s2, s6, s14
	s_mul_i32 s3, s6, s14
	s_add_i32 s1, s2, s1
	s_mul_hi_u32 s2, s3, 20
	s_mul_i32 s1, s1, 20
	s_add_i32 s1, s2, s1
	s_mul_i32 s3, s3, 20
	s_add_u32 s2, s22, s3
	s_addc_u32 s3, s23, s1
	s_ashr_i32 s8, s31, 2
	s_add_u32 s0, s10, s0
	s_addc_u32 s1, s11, 0
	s_add_u32 s4, s0, s16
	s_addc_u32 s5, s1, s17
	global_load_dword v45, v59, s[4:5]
	s_mov_b32 s18, 0x42b17218
	v_mov_b32_e32 v60, 0x7f800000
	ds_read_b128 v[40:43], v58
	ds_read_b128 v[52:55], v58 offset:16
	s_add_u32 s2, s2, s16
	s_addc_u32 s3, s3, s17
	s_ashr_i32 s10, s37, 2
	s_ashr_i32 s9, s8, 31
	s_ashr_i32 s11, s10, 31
	s_waitcnt vmcnt(0)
	v_pk_mul_f32 v[38:39], v[44:45], v[14:15] op_sel_hi:[0,1]
	v_mul_f32_e32 v50, 0x3fb8aa3b, v39
	v_pk_mul_f32 v[46:47], v[44:45], v[16:17] op_sel_hi:[0,1]
	v_mul_f32_e32 v51, 0x3fb8aa3b, v38
	v_fma_f32 v62, v39, s19, -v50
	v_rndne_f32_e32 v63, v50
	v_mul_f32_e32 v56, 0x3fb8aa3b, v47
	v_fma_f32 v64, v38, s19, -v51
	v_rndne_f32_e32 v65, v51
	v_fmac_f32_e32 v62, 0x32a5705f, v39
	v_sub_f32_e32 v50, v50, v63
	v_mul_f32_e32 v57, 0x3fb8aa3b, v46
	v_fma_f32 v66, v47, s19, -v56
	v_rndne_f32_e32 v67, v56
	v_fmac_f32_e32 v64, 0x32a5705f, v38
	v_sub_f32_e32 v51, v51, v65
	v_add_f32_e32 v50, v50, v62
	v_fma_f32 v68, v46, s19, -v57
	v_rndne_f32_e32 v69, v57
	v_cvt_i32_f32_e32 v63, v63
	v_fmac_f32_e32 v66, 0x32a5705f, v47
	v_sub_f32_e32 v56, v56, v67
	v_add_f32_e32 v51, v51, v64
	v_exp_f32_e32 v50, v50
	v_cvt_i32_f32_e32 v65, v65
	v_fmac_f32_e32 v68, 0x32a5705f, v46
	v_sub_f32_e32 v57, v57, v69
	v_add_f32_e32 v56, v56, v66
	v_exp_f32_e32 v51, v51
	v_cvt_i32_f32_e32 v67, v67
	v_add_f32_e32 v57, v57, v68
	v_exp_f32_e32 v56, v56
	v_cvt_i32_f32_e32 v69, v69
	v_exp_f32_e32 v57, v57
	v_ldexp_f32 v50, v50, v63
	v_cmp_ngt_f32_e64 s[0:1], s7, v39
	v_ldexp_f32 v51, v51, v65
	v_cndmask_b32_e64 v50, 0, v50, s[0:1]
	v_cmp_ngt_f32_e64 s[0:1], s7, v38
	v_ldexp_f32 v56, v56, v67
	v_cndmask_b32_e64 v51, 0, v51, s[0:1]
	;; [unrolled: 3-line block ×3, first 2 shown]
	v_cmp_ngt_f32_e64 s[0:1], s7, v46
	v_cndmask_b32_e64 v64, 0, v57, s[0:1]
	v_cmp_nlt_f32_e64 s[0:1], s18, v39
	v_cndmask_b32_e64 v57, v60, v50, s[0:1]
	v_cmp_nlt_f32_e64 s[0:1], s18, v38
	v_cndmask_b32_e64 v56, v60, v51, s[0:1]
	v_cmp_nlt_f32_e64 s[0:1], s18, v47
	v_cndmask_b32_e64 v63, v60, v62, s[0:1]
	v_cmp_nlt_f32_e64 s[0:1], s18, v46
	v_mul_f32_e32 v46, v44, v45
	v_cndmask_b32_e64 v62, v60, v64, s[0:1]
	s_waitcnt lgkmcnt(1)
	v_pk_mul_f32 v[40:41], v[46:47], v[40:41] op_sel_hi:[0,1]
	v_pk_mul_f32 v[42:43], v[46:47], v[42:43] op_sel_hi:[0,1]
	v_pk_fma_f32 v[30:31], v[30:31], v[56:57], v[40:41]
	v_pk_fma_f32 v[32:33], v[32:33], v[62:63], v[42:43]
	ds_read_b128 v[40:43], v58 offset:64
	ds_read_b128 v[62:65], v58 offset:80
	v_pk_mul_f32 v[56:57], v[44:45], v[10:11] op_sel_hi:[0,1]
	v_mul_f32_e32 v45, 0x3fb8aa3b, v57
	v_fma_f32 v47, v57, s19, -v45
	s_waitcnt lgkmcnt(1)
	v_fma_f32 v70, v40, v30, 0
	v_rndne_f32_e32 v66, v45
	v_fmac_f32_e32 v70, v41, v31
	v_fmac_f32_e32 v47, 0x32a5705f, v57
	v_sub_f32_e32 v45, v45, v66
	v_fmac_f32_e32 v70, v42, v32
	v_mul_f32_e32 v41, 0x3fb8aa3b, v56
	v_add_f32_e32 v45, v45, v47
	v_fmac_f32_e32 v70, v43, v33
	v_fma_f32 v42, v56, s19, -v41
	v_rndne_f32_e32 v43, v41
	v_mov_b32_e32 v38, s5
	v_add_co_u32_e64 v50, s[0:1], s4, v59
	v_exp_f32_e32 v40, v45
	v_cvt_i32_f32_e32 v45, v66
	v_fmac_f32_e32 v42, 0x32a5705f, v56
	v_sub_f32_e32 v41, v41, v43
	v_addc_co_u32_e64 v51, s[0:1], 0, v38, s[0:1]
	v_add_f32_e32 v41, v41, v42
	v_mov_b32_e32 v39, s3
	v_add_co_u32_e64 v38, s[0:1], s2, v59
	v_exp_f32_e32 v42, v41
	v_cvt_i32_f32_e32 v43, v43
	v_addc_co_u32_e64 v39, s[0:1], 0, v39, s[0:1]
	v_ldexp_f32 v40, v40, v45
	v_cmp_ngt_f32_e64 s[0:1], s7, v57
	v_cndmask_b32_e64 v40, 0, v40, s[0:1]
	v_cmp_nlt_f32_e64 s[0:1], s18, v57
	v_cndmask_b32_e64 v41, v60, v40, s[0:1]
	v_ldexp_f32 v40, v42, v43
	v_pk_mul_f32 v[42:43], v[44:45], v[12:13] op_sel_hi:[0,1]
	v_mul_f32_e32 v45, 0x3fb8aa3b, v43
	v_fma_f32 v47, v43, s19, -v45
	v_rndne_f32_e32 v57, v45
	v_fmac_f32_e32 v47, 0x32a5705f, v43
	v_sub_f32_e32 v45, v45, v57
	v_add_f32_e32 v45, v45, v47
	v_cvt_i32_f32_e32 v47, v57
	v_cmp_ngt_f32_e64 s[0:1], s7, v56
	v_cndmask_b32_e64 v40, 0, v40, s[0:1]
	v_cmp_nlt_f32_e64 s[0:1], s18, v56
	v_cndmask_b32_e64 v40, v60, v40, s[0:1]
	v_pk_mul_f32 v[52:53], v[46:47], v[52:53] op_sel_hi:[0,1]
	v_pk_fma_f32 v[52:53], v[26:27], v[40:41], v[52:53]
	v_mul_f32_e32 v27, 0x3fb8aa3b, v42
	v_fma_f32 v40, v42, s19, -v27
	v_rndne_f32_e32 v41, v27
	v_exp_f32_e32 v45, v45
	v_fmac_f32_e32 v40, 0x32a5705f, v42
	v_sub_f32_e32 v27, v27, v41
	v_add_f32_e32 v27, v27, v40
	v_exp_f32_e32 v40, v27
	v_cvt_i32_f32_e32 v41, v41
	v_ldexp_f32 v26, v45, v47
	v_cmp_ngt_f32_e64 s[0:1], s7, v43
	v_cndmask_b32_e64 v26, 0, v26, s[0:1]
	v_cmp_nlt_f32_e64 s[0:1], s18, v43
	v_cndmask_b32_e64 v27, v60, v26, s[0:1]
	v_ldexp_f32 v26, v40, v41
	v_cmp_ngt_f32_e64 s[0:1], s7, v42
	v_cndmask_b32_e64 v26, 0, v26, s[0:1]
	v_cmp_nlt_f32_e64 s[0:1], s18, v42
	v_cndmask_b32_e64 v26, v60, v26, s[0:1]
	v_pk_mul_f32 v[40:41], v[46:47], v[54:55] op_sel_hi:[0,1]
	v_pk_mul_f32 v[42:43], v[44:45], v[6:7] op_sel_hi:[0,1]
	v_pk_fma_f32 v[40:41], v[28:29], v[26:27], v[40:41]
	v_mul_f32_e32 v26, 0x3fb8aa3b, v43
	v_fma_f32 v27, v43, s19, -v26
	v_rndne_f32_e32 v45, v26
	v_fmac_f32_e32 v27, 0x32a5705f, v43
	v_sub_f32_e32 v26, v26, v45
	v_add_f32_e32 v47, v26, v27
	v_exp_f32_e32 v47, v47
	v_cvt_i32_f32_e32 v45, v45
	v_cmp_ngt_f32_e64 s[0:1], s7, v43
	ds_read_b128 v[26:29], v58 offset:32
	ds_read_b128 v[66:69], v58 offset:48
	s_waitcnt lgkmcnt(2)
	v_fmac_f32_e32 v70, v62, v52
	v_ldexp_f32 v45, v47, v45
	v_mul_f32_e32 v47, 0x3fb8aa3b, v42
	v_fma_f32 v54, v42, s19, -v47
	v_rndne_f32_e32 v55, v47
	v_fmac_f32_e32 v54, 0x32a5705f, v42
	v_sub_f32_e32 v47, v47, v55
	v_add_f32_e32 v47, v47, v54
	v_exp_f32_e32 v47, v47
	v_cvt_i32_f32_e32 v54, v55
	v_cndmask_b32_e64 v45, 0, v45, s[0:1]
	v_cmp_nlt_f32_e64 s[0:1], s18, v43
	v_cndmask_b32_e64 v43, v60, v45, s[0:1]
	v_ldexp_f32 v45, v47, v54
	v_cmp_ngt_f32_e64 s[0:1], s7, v42
	v_cndmask_b32_e64 v45, 0, v45, s[0:1]
	v_pk_mul_f32 v[56:57], v[44:45], v[8:9] op_sel_hi:[0,1]
	v_mul_f32_e32 v47, 0x3fb8aa3b, v57
	v_fma_f32 v54, v57, s19, -v47
	v_rndne_f32_e32 v55, v47
	v_fmac_f32_e32 v54, 0x32a5705f, v57
	v_sub_f32_e32 v47, v47, v55
	v_add_f32_e32 v47, v47, v54
	v_exp_f32_e32 v47, v47
	v_cmp_nlt_f32_e64 s[0:1], s18, v42
	v_cndmask_b32_e64 v42, v60, v45, s[0:1]
	v_cvt_i32_f32_e32 v62, v55
	s_waitcnt lgkmcnt(1)
	v_pk_mul_f32 v[26:27], v[46:47], v[26:27] op_sel_hi:[0,1]
	v_pk_fma_f32 v[54:55], v[22:23], v[42:43], v[26:27]
	v_mul_f32_e32 v23, 0x3fb8aa3b, v56
	v_fma_f32 v26, v56, s19, -v23
	v_rndne_f32_e32 v27, v23
	v_fmac_f32_e32 v26, 0x32a5705f, v56
	v_sub_f32_e32 v23, v23, v27
	v_add_f32_e32 v23, v23, v26
	v_exp_f32_e32 v26, v23
	v_cvt_i32_f32_e32 v27, v27
	v_ldexp_f32 v22, v47, v62
	v_cmp_ngt_f32_e64 s[0:1], s7, v57
	v_cndmask_b32_e64 v22, 0, v22, s[0:1]
	v_cmp_nlt_f32_e64 s[0:1], s18, v57
	v_cndmask_b32_e64 v23, v60, v22, s[0:1]
	v_ldexp_f32 v22, v26, v27
	v_cmp_ngt_f32_e64 s[0:1], s7, v56
	v_cndmask_b32_e64 v22, 0, v22, s[0:1]
	v_cmp_nlt_f32_e64 s[0:1], s18, v56
	v_cndmask_b32_e64 v22, v60, v22, s[0:1]
	v_pk_mul_f32 v[26:27], v[46:47], v[28:29] op_sel_hi:[0,1]
	v_pk_fma_f32 v[42:43], v[24:25], v[22:23], v[26:27]
	v_pk_mul_f32 v[26:27], v[44:45], v[2:3] op_sel_hi:[0,1]
	v_mul_f32_e32 v28, 0x3fb8aa3b, v27
	v_fma_f32 v29, v27, s19, -v28
	v_rndne_f32_e32 v45, v28
	v_fmac_f32_e32 v29, 0x32a5705f, v27
	v_sub_f32_e32 v28, v28, v45
	v_add_f32_e32 v28, v28, v29
	v_exp_f32_e32 v28, v28
	v_cvt_i32_f32_e32 v29, v45
	v_fmac_f32_e32 v70, v63, v53
	v_fmac_f32_e32 v70, v64, v40
	;; [unrolled: 1-line block ×3, first 2 shown]
	v_ldexp_f32 v28, v28, v29
	v_mul_f32_e32 v29, 0x3fb8aa3b, v26
	v_fma_f32 v45, v26, s19, -v29
	v_rndne_f32_e32 v47, v29
	v_fmac_f32_e32 v45, 0x32a5705f, v26
	v_sub_f32_e32 v29, v29, v47
	v_add_f32_e32 v29, v29, v45
	v_exp_f32_e32 v29, v29
	v_cvt_i32_f32_e32 v45, v47
	ds_read_b128 v[62:65], v58 offset:96
	ds_read_b128 v[22:25], v58 offset:112
	v_cmp_ngt_f32_e64 s[0:1], s7, v27
	v_cndmask_b32_e64 v28, 0, v28, s[0:1]
	v_cmp_nlt_f32_e64 s[0:1], s18, v27
	v_cndmask_b32_e64 v27, v60, v28, s[0:1]
	v_ldexp_f32 v28, v29, v45
	v_cmp_ngt_f32_e64 s[0:1], s7, v26
	v_pk_mul_f32 v[56:57], v[44:45], v[4:5] op_sel_hi:[0,1]
	v_cndmask_b32_e64 v28, 0, v28, s[0:1]
	v_cmp_nlt_f32_e64 s[0:1], s18, v26
	v_mul_f32_e32 v44, 0x3fb8aa3b, v57
	s_waitcnt lgkmcnt(1)
	v_fmac_f32_e32 v70, v62, v54
	v_cndmask_b32_e64 v26, v60, v28, s[0:1]
	v_pk_mul_f32 v[28:29], v[46:47], v[66:67] op_sel_hi:[0,1]
	v_fma_f32 v45, v57, s19, -v44
	v_rndne_f32_e32 v47, v44
	v_fmac_f32_e32 v70, v63, v55
	v_fmac_f32_e32 v45, 0x32a5705f, v57
	v_sub_f32_e32 v44, v44, v47
	v_fmac_f32_e32 v70, v64, v42
	v_add_f32_e32 v44, v44, v45
	v_fmac_f32_e32 v70, v65, v43
	v_exp_f32_e32 v58, v44
	v_pk_fma_f32 v[44:45], v[18:19], v[26:27], v[28:29]
	s_waitcnt lgkmcnt(0)
	v_fmac_f32_e32 v70, v22, v44
	v_mul_f32_e32 v19, 0x3fb8aa3b, v56
	v_fmac_f32_e32 v70, v23, v45
	v_fma_f32 v22, v56, s19, -v19
	v_rndne_f32_e32 v23, v19
	v_cvt_i32_f32_e32 v47, v47
	v_fmac_f32_e32 v22, 0x32a5705f, v56
	v_sub_f32_e32 v19, v19, v23
	v_add_f32_e32 v19, v19, v22
	v_exp_f32_e32 v22, v19
	v_cvt_i32_f32_e32 v23, v23
	v_ldexp_f32 v18, v58, v47
	v_cmp_ngt_f32_e64 s[0:1], s7, v57
	v_cndmask_b32_e64 v18, 0, v18, s[0:1]
	v_cmp_nlt_f32_e64 s[0:1], s18, v57
	v_cndmask_b32_e64 v19, v60, v18, s[0:1]
	v_ldexp_f32 v18, v22, v23
	v_cmp_ngt_f32_e64 s[0:1], s7, v56
	v_cndmask_b32_e64 v18, 0, v18, s[0:1]
	v_cmp_nlt_f32_e64 s[0:1], s18, v56
	v_cndmask_b32_e64 v18, v60, v18, s[0:1]
	v_pk_mul_f32 v[22:23], v[46:47], v[68:69] op_sel_hi:[0,1]
	v_pk_fma_f32 v[46:47], v[20:21], v[18:19], v[22:23]
	v_fmac_f32_e32 v70, v24, v46
	v_fmac_f32_e32 v70, v25, v47
	global_store_dword v59, v70, s[2:3]
	s_barrier
	s_and_saveexec_b64 s[2:3], vcc
	s_cbranch_execz .LBB6_6
; %bb.5:
	s_lshl_b64 s[0:1], s[8:9], 2
	v_mov_b32_e32 v19, s1
	v_add_co_u32_e64 v18, s[0:1], s0, v36
	v_addc_co_u32_e64 v19, s[0:1], v37, v19, s[0:1]
	s_lshl_b64 s[0:1], s[10:11], 2
	global_load_dword v20, v[18:19], off
	v_mov_b32_e32 v19, s1
	v_add_co_u32_e64 v18, s[0:1], s0, v0
	v_addc_co_u32_e64 v19, s[0:1], v1, v19, s[0:1]
	global_load_dword v18, v[18:19], off
	s_waitcnt vmcnt(1)
	ds_write_b32 v59, v20
	s_waitcnt vmcnt(0)
	ds_write_b32 v61, v18
.LBB6_6:
	s_or_b64 exec, exec, s[2:3]
	s_ashr_i32 s0, s28, 2
	s_ashr_i32 s1, s0, 31
	s_lshl_b64 s[18:19], s[0:1], 2
	v_mov_b32_e32 v18, s19
	v_add_co_u32_e64 v48, s[0:1], s18, v48
	v_addc_co_u32_e64 v49, s[0:1], v49, v18, s[0:1]
	s_waitcnt lgkmcnt(0)
	s_barrier
	global_load_dword v56, v[48:49], off
	s_mov_b32 s0, 0x41a00000
	s_waitcnt vmcnt(0)
	v_cmp_ge_f32_e64 s[0:1], s0, v56
	s_and_saveexec_b64 s[4:5], s[0:1]
	s_cbranch_execz .LBB6_8
; %bb.7:
	v_mul_f32_e32 v18, 0x3fb8aa3b, v56
	s_mov_b32 s0, 0x3fb8aa3b
	v_rndne_f32_e32 v19, v18
	v_sub_f32_e32 v20, v18, v19
	v_fma_f32 v18, v56, s0, -v18
	v_fmac_f32_e32 v18, 0x32a5705f, v56
	v_add_f32_e32 v18, v20, v18
	v_exp_f32_e32 v18, v18
	v_cvt_i32_f32_e32 v19, v19
	s_mov_b32 s0, 0xc2ce8ed0
	v_cmp_ngt_f32_e64 s[0:1], s0, v56
	s_mov_b32 s2, 0x7f800000
	v_ldexp_f32 v18, v18, v19
	v_cndmask_b32_e64 v18, 0, v18, s[0:1]
	s_mov_b32 s0, 0x42b17218
	v_mov_b32_e32 v19, 0x7f800000
	v_cmp_nlt_f32_e64 s[0:1], s0, v56
	v_cndmask_b32_e64 v58, v19, v18, s[0:1]
	v_add_f32_e32 v20, 1.0, v58
	v_add_f32_e32 v18, -1.0, v20
	v_sub_f32_e32 v19, v18, v20
	v_add_f32_e32 v19, 1.0, v19
	v_sub_f32_e32 v18, v58, v18
	v_add_f32_e32 v21, v18, v19
	v_frexp_mant_f32_e32 v22, v20
	s_mov_b32 s0, 0x3f2aaaab
	v_cvt_f64_f32_e32 v[18:19], v20
	v_frexp_exp_i32_f64_e32 v18, v[18:19]
	v_cmp_gt_f32_e64 s[0:1], s0, v22
	v_subbrev_co_u32_e64 v26, s[0:1], 0, v18, s[0:1]
	v_sub_u32_e32 v18, 0, v26
	v_ldexp_f32 v19, v20, v18
	v_add_f32_e32 v20, -1.0, v19
	v_add_f32_e32 v22, 1.0, v19
	v_ldexp_f32 v18, v21, v18
	v_add_f32_e32 v21, 1.0, v20
	v_add_f32_e32 v23, -1.0, v22
	v_sub_f32_e32 v21, v19, v21
	v_sub_f32_e32 v19, v19, v23
	v_add_f32_e32 v21, v18, v21
	v_add_f32_e32 v18, v18, v19
	;; [unrolled: 1-line block ×3, first 2 shown]
	v_rcp_f32_e32 v29, v27
	v_sub_f32_e32 v19, v22, v27
	v_add_f32_e32 v28, v18, v19
	v_add_f32_e32 v19, v20, v21
	v_mul_f32_e32 v57, v19, v29
	v_sub_f32_e32 v18, v20, v19
	v_mul_f32_e32 v20, v27, v57
	v_fma_f32 v22, v57, v27, -v20
	v_fmac_f32_e32 v22, v57, v28
	v_add_f32_e32 v56, v21, v18
	v_add_f32_e32 v18, v20, v22
	v_sub_f32_e32 v21, v19, v18
	v_pk_add_f32 v[24:25], v[18:19], v[20:21] neg_lo:[0,1] neg_hi:[0,1]
	v_mov_b32_e32 v23, v18
	v_pk_add_f32 v[18:19], v[24:25], v[22:23] neg_lo:[0,1] neg_hi:[0,1]
	v_add_f32_e32 v19, v56, v19
	v_add_f32_e32 v18, v18, v19
	;; [unrolled: 1-line block ×3, first 2 shown]
	v_mul_f32_e32 v56, v29, v19
	v_mul_f32_e32 v20, v27, v56
	v_fma_f32 v22, v56, v27, -v20
	v_fmac_f32_e32 v22, v56, v28
	v_sub_f32_e32 v21, v21, v19
	v_add_f32_e32 v27, v18, v21
	v_add_f32_e32 v18, v20, v22
	v_sub_f32_e32 v21, v19, v18
	v_pk_add_f32 v[24:25], v[18:19], v[20:21] neg_lo:[0,1] neg_hi:[0,1]
	v_mov_b32_e32 v23, v18
	v_pk_add_f32 v[18:19], v[24:25], v[22:23] neg_lo:[0,1] neg_hi:[0,1]
	v_add_f32_e32 v19, v27, v19
	v_add_f32_e32 v18, v18, v19
	;; [unrolled: 1-line block ×4, first 2 shown]
	v_sub_f32_e32 v19, v21, v57
	v_mul_f32_e32 v18, v29, v18
	v_sub_f32_e32 v19, v56, v19
	v_add_f32_e32 v18, v19, v18
	v_add_f32_e32 v22, v21, v18
	v_mul_f32_e32 v24, v22, v22
	v_mov_b32_e32 v20, 0x3ecc95a3
	v_fmac_f32_e32 v20, 0x3e9b6dac, v24
	v_mov_b32_e32 v19, 0x3f2aaada
	v_fmac_f32_e32 v19, v24, v20
	v_cvt_f32_i32_e32 v20, v26
	v_sub_f32_e32 v21, v22, v21
	v_sub_f32_e32 v18, v18, v21
	v_ldexp_f32 v25, v18, 1
	v_mul_f32_e32 v21, v22, v24
	v_mov_b32_e32 v18, 0x3f317218
	s_mov_b32 s0, 0x3f317218
	v_pk_mul_f32 v[18:19], v[20:21], v[18:19]
	v_ldexp_f32 v23, v22, 1
	v_fma_f32 v22, v20, s0, -v18
	v_fmac_f32_e32 v22, 0xb102e308, v20
	v_pk_add_f32 v[20:21], v[18:19], v[22:23]
	v_sub_f32_e32 v23, v21, v23
	v_sub_f32_e32 v23, v19, v23
	v_add_f32_e32 v25, v25, v23
	v_mov_b32_e32 v24, v18
	v_pk_add_f32 v[18:19], v[20:21], v[18:19] neg_lo:[0,1] neg_hi:[0,1]
	v_pk_add_f32 v[26:27], v[20:21], v[24:25]
	v_mov_b32_e32 v19, v27
	v_mov_b32_e32 v23, v20
	v_pk_add_f32 v[28:29], v[22:23], v[18:19] neg_lo:[0,1] neg_hi:[0,1]
	v_pk_add_f32 v[18:19], v[22:23], v[18:19]
	v_mov_b32_e32 v22, v19
	v_pk_add_f32 v[56:57], v[22:23], v[20:21] neg_lo:[0,1] neg_hi:[0,1]
	v_mov_b32_e32 v23, v56
	v_pk_add_f32 v[62:63], v[26:27], v[22:23] neg_lo:[0,1] neg_hi:[0,1]
	v_mov_b32_e32 v18, v27
	v_mov_b32_e32 v26, v21
	v_mov_b32_e32 v27, v56
	v_mov_b32_e32 v29, v19
	v_pk_add_f32 v[18:19], v[18:19], v[26:27] neg_lo:[0,1] neg_hi:[0,1]
	v_mov_b32_e32 v24, v25
	v_mov_b32_e32 v25, v20
	v_pk_add_f32 v[18:19], v[24:25], v[18:19] neg_lo:[0,1] neg_hi:[0,1]
	v_mov_b32_e32 v62, v28
	v_pk_add_f32 v[20:21], v[62:63], v[18:19]
	v_mov_b32_e32 v24, v21
	v_pk_add_f32 v[24:25], v[20:21], v[24:25]
	v_pk_add_f32 v[22:23], v[22:23], v[24:25]
	v_mov_b32_e32 v21, v22
	v_pk_add_f32 v[26:27], v[20:21], v[28:29] neg_lo:[0,1] neg_hi:[0,1]
	v_mov_b32_e32 v19, v24
	v_sub_f32_e32 v20, v20, v26
	v_pk_add_f32 v[18:19], v[18:19], v[26:27] neg_lo:[0,1] neg_hi:[0,1]
	v_sub_f32_e32 v20, v28, v20
	v_add_f32_e32 v18, v18, v20
	v_cmp_eq_f32_e64 s[0:1], s2, v58
	s_mov_b32 s2, 0x33800000
	v_add_f32_e32 v18, v18, v19
	v_cmp_gt_f32_e64 s[2:3], s2, v58
	v_add_f32_e32 v18, v22, v18
	s_or_b64 s[0:1], s[2:3], s[0:1]
	v_cndmask_b32_e64 v56, v18, v58, s[0:1]
.LBB6_8:
	s_or_b64 exec, exec, s[4:5]
	s_ashr_i32 s0, s26, 2
	s_ashr_i32 s1, s0, 31
	s_lshl_b64 s[20:21], s[0:1], 2
	v_mov_b32_e32 v18, s21
	v_add_co_u32_e64 v50, s[0:1], s20, v50
	v_addc_co_u32_e64 v51, s[0:1], v51, v18, s[0:1]
	global_load_dword v57, v[50:51], off
	s_mov_b32 s17, 0x3fb8aa3b
	v_mov_b32_e32 v60, 0
	ds_read_b128 v[26:29], v60
	ds_read_b128 v[62:65], v60 offset:16
	s_bfe_i64 s[26:27], s[14:15], 0x200000
	s_mov_b32 s15, 0x42b17218
	v_mov_b32_e32 v80, 0x7f800000
	ds_read_b128 v[22:25], v60 offset:32
	ds_read_b128 v[18:21], v60 offset:48
	s_mov_b32 s16, 0
	s_waitcnt vmcnt(0)
	v_pk_mul_f32 v[66:67], v[56:57], v[14:15] op_sel_hi:[0,1]
	v_pk_mul_f32 v[74:75], v[56:57], v[16:17] op_sel_hi:[0,1]
	v_mul_f32_e32 v58, 0x3fb8aa3b, v67
	v_mul_f32_e32 v68, 0x3fb8aa3b, v66
	;; [unrolled: 1-line block ×3, first 2 shown]
	v_fma_f32 v72, v67, s17, -v58
	v_rndne_f32_e32 v73, v58
	v_mul_f32_e32 v70, 0x3fb8aa3b, v74
	v_fma_f32 v78, v66, s17, -v68
	v_rndne_f32_e32 v79, v68
	v_fma_f32 v81, v75, s17, -v69
	v_rndne_f32_e32 v82, v69
	v_fmac_f32_e32 v72, 0x32a5705f, v67
	v_sub_f32_e32 v58, v58, v73
	v_fma_f32 v83, v74, s17, -v70
	v_rndne_f32_e32 v84, v70
	v_add_f32_e32 v58, v58, v72
	v_fmac_f32_e32 v78, 0x32a5705f, v66
	v_sub_f32_e32 v68, v68, v79
	v_fmac_f32_e32 v81, 0x32a5705f, v75
	v_sub_f32_e32 v69, v69, v82
	v_add_f32_e32 v68, v68, v78
	v_cvt_i32_f32_e32 v73, v73
	v_fmac_f32_e32 v83, 0x32a5705f, v74
	v_sub_f32_e32 v70, v70, v84
	v_add_f32_e32 v69, v69, v81
	v_exp_f32_e32 v58, v58
	v_cvt_i32_f32_e32 v78, v79
	v_cvt_i32_f32_e32 v79, v82
	v_add_f32_e32 v70, v70, v83
	v_exp_f32_e32 v68, v68
	v_exp_f32_e32 v69, v69
	v_cvt_i32_f32_e32 v82, v84
	v_exp_f32_e32 v83, v70
	v_pk_mul_f32 v[76:77], v[56:57], v[10:11] op_sel_hi:[0,1]
	v_ldexp_f32 v58, v58, v73
	v_cmp_ngt_f32_e64 s[0:1], s7, v67
	v_mul_f32_e32 v71, 0x3fb8aa3b, v77
	v_ldexp_f32 v68, v68, v78
	v_ldexp_f32 v78, v69, v79
	v_cndmask_b32_e64 v58, 0, v58, s[0:1]
	v_cmp_ngt_f32_e64 s[0:1], s7, v66
	v_cmp_ngt_f32_e64 s[4:5], s7, v75
	v_fma_f32 v72, v77, s17, -v71
	v_rndne_f32_e32 v85, v71
	v_cndmask_b32_e64 v84, 0, v68, s[0:1]
	v_cmp_nlt_f32_e64 s[0:1], s15, v67
	v_ldexp_f32 v79, v83, v82
	v_cndmask_b32_e64 v82, 0, v78, s[4:5]
	v_cmp_ngt_f32_e64 s[4:5], s7, v74
	v_fmac_f32_e32 v72, 0x32a5705f, v77
	v_sub_f32_e32 v71, v71, v85
	v_cmp_nlt_f32_e64 s[2:3], s15, v66
	v_cndmask_b32_e64 v83, 0, v79, s[4:5]
	v_cndmask_b32_e64 v79, v80, v58, s[0:1]
	v_mul_f32_e32 v58, v56, v57
	v_add_f32_e32 v81, v71, v72
	v_cndmask_b32_e64 v78, v80, v84, s[2:3]
	s_waitcnt lgkmcnt(3)
	v_pk_mul_f32 v[26:27], v[58:59], v[26:27] op_sel_hi:[0,1]
	v_pk_fma_f32 v[26:27], v[30:31], v[78:79], v[26:27]
	v_exp_f32_e32 v30, v81
	v_cvt_i32_f32_e32 v31, v85
	v_cmp_nlt_f32_e64 s[0:1], s15, v75
	v_cndmask_b32_e64 v75, v80, v82, s[0:1]
	v_cmp_nlt_f32_e64 s[0:1], s15, v74
	ds_read_b128 v[66:69], v60 offset:64
	ds_read_b128 v[70:73], v60 offset:80
	v_cndmask_b32_e64 v74, v80, v83, s[0:1]
	v_pk_mul_f32 v[28:29], v[58:59], v[28:29] op_sel_hi:[0,1]
	v_ldexp_f32 v30, v30, v31
	v_mul_f32_e32 v31, 0x3fb8aa3b, v76
	v_pk_fma_f32 v[28:29], v[32:33], v[74:75], v[28:29]
	v_fma_f32 v32, v76, s17, -v31
	v_rndne_f32_e32 v33, v31
	v_fmac_f32_e32 v32, 0x32a5705f, v76
	v_sub_f32_e32 v31, v31, v33
	v_add_f32_e32 v31, v31, v32
	s_waitcnt lgkmcnt(1)
	v_fma_f32 v57, v66, v26, 0
	v_exp_f32_e32 v32, v31
	v_cvt_i32_f32_e32 v33, v33
	v_fmac_f32_e32 v57, v67, v27
	v_fmac_f32_e32 v57, v68, v28
	v_cmp_ngt_f32_e64 s[0:1], s7, v77
	v_fmac_f32_e32 v57, v69, v29
	v_cndmask_b32_e64 v30, 0, v30, s[0:1]
	v_cmp_nlt_f32_e64 s[0:1], s15, v77
	v_cndmask_b32_e64 v31, v80, v30, s[0:1]
	v_ldexp_f32 v30, v32, v33
	v_cmp_ngt_f32_e64 s[0:1], s7, v76
	v_pk_mul_f32 v[32:33], v[58:59], v[62:63] op_sel_hi:[0,1]
	v_pk_mul_f32 v[62:63], v[56:57], v[12:13] op_sel_hi:[0,1]
	v_cndmask_b32_e64 v30, 0, v30, s[0:1]
	v_cmp_nlt_f32_e64 s[0:1], s15, v76
	v_mul_f32_e32 v66, 0x3fb8aa3b, v63
	v_cndmask_b32_e64 v30, v80, v30, s[0:1]
	v_fma_f32 v67, v63, s17, -v66
	v_rndne_f32_e32 v68, v66
	v_fmac_f32_e32 v67, 0x32a5705f, v63
	v_sub_f32_e32 v66, v66, v68
	v_pk_fma_f32 v[30:31], v[52:53], v[30:31], v[32:33]
	v_mul_f32_e32 v33, 0x3fb8aa3b, v62
	v_add_f32_e32 v66, v66, v67
	v_fma_f32 v52, v62, s17, -v33
	v_rndne_f32_e32 v53, v33
	v_exp_f32_e32 v66, v66
	v_cvt_i32_f32_e32 v67, v68
	v_fmac_f32_e32 v52, 0x32a5705f, v62
	v_sub_f32_e32 v33, v33, v53
	v_add_f32_e32 v33, v33, v52
	v_exp_f32_e32 v52, v33
	v_cvt_i32_f32_e32 v53, v53
	v_ldexp_f32 v32, v66, v67
	v_cmp_ngt_f32_e64 s[0:1], s7, v63
	s_waitcnt lgkmcnt(0)
	v_fmac_f32_e32 v57, v70, v30
	v_cndmask_b32_e64 v32, 0, v32, s[0:1]
	v_cmp_nlt_f32_e64 s[0:1], s15, v63
	v_fmac_f32_e32 v57, v71, v31
	v_cndmask_b32_e64 v33, v80, v32, s[0:1]
	v_ldexp_f32 v32, v52, v53
	v_cmp_ngt_f32_e64 s[0:1], s7, v62
	v_cndmask_b32_e64 v32, 0, v32, s[0:1]
	v_cmp_nlt_f32_e64 s[0:1], s15, v62
	v_pk_mul_f32 v[62:63], v[56:57], v[6:7] op_sel_hi:[0,1]
	v_pk_mul_f32 v[52:53], v[58:59], v[64:65] op_sel_hi:[0,1]
	v_mul_f32_e32 v64, 0x3fb8aa3b, v63
	v_cndmask_b32_e64 v32, v80, v32, s[0:1]
	v_fma_f32 v65, v63, s17, -v64
	v_rndne_f32_e32 v66, v64
	v_fmac_f32_e32 v65, 0x32a5705f, v63
	v_sub_f32_e32 v64, v64, v66
	v_pk_fma_f32 v[32:33], v[40:41], v[32:33], v[52:53]
	v_mul_f32_e32 v41, 0x3fb8aa3b, v62
	v_add_f32_e32 v64, v64, v65
	v_fma_f32 v52, v62, s17, -v41
	v_rndne_f32_e32 v53, v41
	v_exp_f32_e32 v64, v64
	v_cvt_i32_f32_e32 v65, v66
	v_fmac_f32_e32 v52, 0x32a5705f, v62
	v_sub_f32_e32 v41, v41, v53
	v_add_f32_e32 v41, v41, v52
	v_exp_f32_e32 v52, v41
	v_cvt_i32_f32_e32 v53, v53
	v_ldexp_f32 v40, v64, v65
	v_cmp_ngt_f32_e64 s[0:1], s7, v63
	v_cndmask_b32_e64 v40, 0, v40, s[0:1]
	v_cmp_nlt_f32_e64 s[0:1], s15, v63
	v_cndmask_b32_e64 v41, v80, v40, s[0:1]
	v_ldexp_f32 v40, v52, v53
	v_cmp_ngt_f32_e64 s[0:1], s7, v62
	v_fmac_f32_e32 v57, v72, v32
	v_cndmask_b32_e64 v40, 0, v40, s[0:1]
	v_cmp_nlt_f32_e64 s[0:1], s15, v62
	v_fmac_f32_e32 v57, v73, v33
	v_cndmask_b32_e64 v40, v80, v40, s[0:1]
	v_pk_mul_f32 v[22:23], v[58:59], v[22:23] op_sel_hi:[0,1]
	v_pk_fma_f32 v[40:41], v[54:55], v[40:41], v[22:23]
	v_pk_mul_f32 v[22:23], v[56:57], v[8:9] op_sel_hi:[0,1]
	v_mul_f32_e32 v52, 0x3fb8aa3b, v23
	v_rndne_f32_e32 v63, v52
	v_fma_f32 v62, v23, s17, -v52
	v_sub_f32_e32 v64, v52, v63
	ds_read_b128 v[52:55], v60 offset:96
	v_fmac_f32_e32 v62, 0x32a5705f, v23
	v_add_f32_e32 v62, v64, v62
	v_exp_f32_e32 v66, v62
	v_cvt_i32_f32_e32 v67, v63
	ds_read_b128 v[62:65], v60 offset:112
	s_waitcnt lgkmcnt(1)
	v_fmac_f32_e32 v57, v52, v40
	v_fmac_f32_e32 v57, v53, v41
	v_mul_f32_e32 v53, 0x3fb8aa3b, v22
	v_ldexp_f32 v52, v66, v67
	v_fma_f32 v60, v22, s17, -v53
	v_rndne_f32_e32 v66, v53
	v_fmac_f32_e32 v60, 0x32a5705f, v22
	v_sub_f32_e32 v53, v53, v66
	v_add_f32_e32 v53, v53, v60
	v_exp_f32_e32 v53, v53
	v_cvt_i32_f32_e32 v60, v66
	v_cmp_ngt_f32_e64 s[0:1], s7, v23
	v_cndmask_b32_e64 v52, 0, v52, s[0:1]
	v_cmp_nlt_f32_e64 s[0:1], s15, v23
	v_cndmask_b32_e64 v23, v80, v52, s[0:1]
	v_ldexp_f32 v52, v53, v60
	v_cmp_ngt_f32_e64 s[0:1], s7, v22
	v_cndmask_b32_e64 v52, 0, v52, s[0:1]
	v_cmp_nlt_f32_e64 s[0:1], s15, v22
	v_cndmask_b32_e64 v22, v80, v52, s[0:1]
	v_pk_mul_f32 v[52:53], v[56:57], v[2:3] op_sel_hi:[0,1]
	v_mul_f32_e32 v60, 0x3fb8aa3b, v53
	v_pk_mul_f32 v[24:25], v[58:59], v[24:25] op_sel_hi:[0,1]
	v_fma_f32 v66, v53, s17, -v60
	v_rndne_f32_e32 v67, v60
	v_fmac_f32_e32 v66, 0x32a5705f, v53
	v_sub_f32_e32 v60, v60, v67
	v_pk_fma_f32 v[42:43], v[42:43], v[22:23], v[24:25]
	v_mul_f32_e32 v23, 0x3fb8aa3b, v52
	v_add_f32_e32 v60, v60, v66
	v_fma_f32 v24, v52, s17, -v23
	v_rndne_f32_e32 v25, v23
	v_exp_f32_e32 v60, v60
	v_cvt_i32_f32_e32 v66, v67
	v_fmac_f32_e32 v24, 0x32a5705f, v52
	v_sub_f32_e32 v23, v23, v25
	v_add_f32_e32 v23, v23, v24
	v_exp_f32_e32 v24, v23
	v_cvt_i32_f32_e32 v25, v25
	v_fmac_f32_e32 v57, v54, v42
	v_ldexp_f32 v22, v60, v66
	v_cmp_ngt_f32_e64 s[0:1], s7, v53
	v_fmac_f32_e32 v57, v55, v43
	v_cndmask_b32_e64 v22, 0, v22, s[0:1]
	v_cmp_nlt_f32_e64 s[0:1], s15, v53
	v_cndmask_b32_e64 v23, v80, v22, s[0:1]
	v_ldexp_f32 v22, v24, v25
	v_cmp_ngt_f32_e64 s[0:1], s7, v52
	v_pk_mul_f32 v[24:25], v[56:57], v[4:5] op_sel_hi:[0,1]
	v_cndmask_b32_e64 v22, 0, v22, s[0:1]
	v_cmp_nlt_f32_e64 s[0:1], s15, v52
	v_mul_f32_e32 v52, 0x3fb8aa3b, v25
	v_cndmask_b32_e64 v22, v80, v22, s[0:1]
	v_pk_mul_f32 v[18:19], v[58:59], v[18:19] op_sel_hi:[0,1]
	v_fma_f32 v53, v25, s17, -v52
	v_rndne_f32_e32 v54, v52
	v_fmac_f32_e32 v53, 0x32a5705f, v25
	v_sub_f32_e32 v52, v52, v54
	v_pk_fma_f32 v[44:45], v[44:45], v[22:23], v[18:19]
	v_mul_f32_e32 v19, 0x3fb8aa3b, v24
	v_add_f32_e32 v52, v52, v53
	v_fma_f32 v22, v24, s17, -v19
	v_rndne_f32_e32 v23, v19
	v_exp_f32_e32 v52, v52
	v_cvt_i32_f32_e32 v53, v54
	v_fmac_f32_e32 v22, 0x32a5705f, v24
	v_sub_f32_e32 v19, v19, v23
	v_add_f32_e32 v19, v19, v22
	v_exp_f32_e32 v22, v19
	v_cvt_i32_f32_e32 v23, v23
	v_ldexp_f32 v18, v52, v53
	v_cmp_ngt_f32_e64 s[0:1], s7, v25
	v_cndmask_b32_e64 v18, 0, v18, s[0:1]
	v_cmp_nlt_f32_e64 s[0:1], s15, v25
	v_cndmask_b32_e64 v19, v80, v18, s[0:1]
	v_ldexp_f32 v18, v22, v23
	v_cmp_ngt_f32_e64 s[0:1], s7, v24
	v_cndmask_b32_e64 v18, 0, v18, s[0:1]
	v_cmp_nlt_f32_e64 s[0:1], s15, v24
	s_waitcnt lgkmcnt(0)
	v_fmac_f32_e32 v57, v62, v44
	v_cndmask_b32_e64 v18, v80, v18, s[0:1]
	v_pk_mul_f32 v[20:21], v[58:59], v[20:21] op_sel_hi:[0,1]
	v_fmac_f32_e32 v57, v63, v45
	v_pk_fma_f32 v[46:47], v[46:47], v[18:19], v[20:21]
	s_lshl_b64 s[0:1], s[26:27], 2
	v_fmac_f32_e32 v57, v64, v46
	v_mov_b32_e32 v19, s1
	v_add_co_u32_e64 v18, s[0:1], s0, v38
	v_fmac_f32_e32 v57, v65, v47
	v_addc_co_u32_e64 v19, s[0:1], v39, v19, s[0:1]
	global_store_dword v[18:19], v57, off
	s_barrier
	s_and_saveexec_b64 s[2:3], vcc
	s_cbranch_execz .LBB6_10
; %bb.9:
	s_lshl_b64 s[0:1], s[8:9], 3
	v_mov_b32_e32 v19, s1
	v_add_co_u32_e64 v18, s[0:1], s0, v36
	v_addc_co_u32_e64 v19, s[0:1], v37, v19, s[0:1]
	s_lshl_b64 s[0:1], s[10:11], 3
	global_load_dword v20, v[18:19], off
	v_mov_b32_e32 v19, s1
	v_add_co_u32_e64 v18, s[0:1], s0, v0
	v_addc_co_u32_e64 v19, s[0:1], v1, v19, s[0:1]
	global_load_dword v18, v[18:19], off
	s_waitcnt vmcnt(1)
	ds_write_b32 v59, v20
	s_waitcnt vmcnt(0)
	ds_write_b32 v61, v18
.LBB6_10:
	s_or_b64 exec, exec, s[2:3]
	v_mov_b32_e32 v18, s19
	v_add_co_u32_e64 v48, s[0:1], s18, v48
	v_addc_co_u32_e64 v49, s[0:1], v49, v18, s[0:1]
	s_waitcnt lgkmcnt(0)
	s_barrier
	global_load_dword v58, v[48:49], off
	s_mov_b32 s0, 0x41a00000
	s_mov_b32 s17, s14
	s_waitcnt vmcnt(0)
	v_cmp_ge_f32_e64 s[0:1], s0, v58
	s_and_saveexec_b64 s[4:5], s[0:1]
	s_cbranch_execz .LBB6_12
; %bb.11:
	v_mul_f32_e32 v18, 0x3fb8aa3b, v58
	s_mov_b32 s0, 0x3fb8aa3b
	v_rndne_f32_e32 v19, v18
	v_sub_f32_e32 v20, v18, v19
	v_fma_f32 v18, v58, s0, -v18
	v_fmac_f32_e32 v18, 0x32a5705f, v58
	v_add_f32_e32 v18, v20, v18
	v_exp_f32_e32 v18, v18
	v_cvt_i32_f32_e32 v19, v19
	s_mov_b32 s0, 0xc2ce8ed0
	v_cmp_ngt_f32_e64 s[0:1], s0, v58
	s_mov_b32 s2, 0x7f800000
	v_ldexp_f32 v18, v18, v19
	v_cndmask_b32_e64 v18, 0, v18, s[0:1]
	s_mov_b32 s0, 0x42b17218
	v_mov_b32_e32 v19, 0x7f800000
	v_cmp_nlt_f32_e64 s[0:1], s0, v58
	v_cndmask_b32_e64 v58, v19, v18, s[0:1]
	v_add_f32_e32 v20, 1.0, v58
	v_add_f32_e32 v18, -1.0, v20
	v_sub_f32_e32 v19, v18, v20
	v_add_f32_e32 v19, 1.0, v19
	v_sub_f32_e32 v18, v58, v18
	v_add_f32_e32 v21, v18, v19
	v_frexp_mant_f32_e32 v22, v20
	s_mov_b32 s0, 0x3f2aaaab
	v_cvt_f64_f32_e32 v[18:19], v20
	v_frexp_exp_i32_f64_e32 v18, v[18:19]
	v_cmp_gt_f32_e64 s[0:1], s0, v22
	v_subbrev_co_u32_e64 v52, s[0:1], 0, v18, s[0:1]
	v_sub_u32_e32 v18, 0, v52
	v_ldexp_f32 v19, v20, v18
	v_add_f32_e32 v20, -1.0, v19
	v_add_f32_e32 v22, 1.0, v19
	v_ldexp_f32 v18, v21, v18
	v_add_f32_e32 v21, 1.0, v20
	v_add_f32_e32 v23, -1.0, v22
	v_sub_f32_e32 v21, v19, v21
	v_sub_f32_e32 v19, v19, v23
	v_add_f32_e32 v21, v18, v21
	v_add_f32_e32 v18, v18, v19
	;; [unrolled: 1-line block ×3, first 2 shown]
	v_rcp_f32_e32 v55, v53
	v_sub_f32_e32 v19, v22, v53
	v_add_f32_e32 v54, v18, v19
	v_add_f32_e32 v19, v20, v21
	v_mul_f32_e32 v57, v19, v55
	v_sub_f32_e32 v18, v20, v19
	v_mul_f32_e32 v20, v53, v57
	v_fma_f32 v22, v57, v53, -v20
	v_fmac_f32_e32 v22, v57, v54
	v_add_f32_e32 v56, v21, v18
	v_add_f32_e32 v18, v20, v22
	v_sub_f32_e32 v21, v19, v18
	v_pk_add_f32 v[24:25], v[18:19], v[20:21] neg_lo:[0,1] neg_hi:[0,1]
	v_mov_b32_e32 v23, v18
	v_pk_add_f32 v[18:19], v[24:25], v[22:23] neg_lo:[0,1] neg_hi:[0,1]
	v_add_f32_e32 v19, v56, v19
	v_add_f32_e32 v18, v18, v19
	;; [unrolled: 1-line block ×3, first 2 shown]
	v_mul_f32_e32 v56, v55, v19
	v_mul_f32_e32 v20, v53, v56
	v_fma_f32 v22, v56, v53, -v20
	v_fmac_f32_e32 v22, v56, v54
	v_sub_f32_e32 v21, v21, v19
	v_add_f32_e32 v53, v18, v21
	v_add_f32_e32 v18, v20, v22
	v_sub_f32_e32 v21, v19, v18
	v_pk_add_f32 v[24:25], v[18:19], v[20:21] neg_lo:[0,1] neg_hi:[0,1]
	v_mov_b32_e32 v23, v18
	v_pk_add_f32 v[18:19], v[24:25], v[22:23] neg_lo:[0,1] neg_hi:[0,1]
	v_add_f32_e32 v19, v53, v19
	v_add_f32_e32 v18, v18, v19
	;; [unrolled: 1-line block ×4, first 2 shown]
	v_sub_f32_e32 v19, v21, v57
	v_mul_f32_e32 v18, v55, v18
	v_sub_f32_e32 v19, v56, v19
	v_add_f32_e32 v18, v19, v18
	v_add_f32_e32 v22, v21, v18
	v_mul_f32_e32 v24, v22, v22
	v_mov_b32_e32 v20, 0x3ecc95a3
	v_fmac_f32_e32 v20, 0x3e9b6dac, v24
	v_mov_b32_e32 v19, 0x3f2aaada
	v_fmac_f32_e32 v19, v24, v20
	v_cvt_f32_i32_e32 v20, v52
	v_sub_f32_e32 v21, v22, v21
	v_sub_f32_e32 v18, v18, v21
	v_ldexp_f32 v25, v18, 1
	v_mul_f32_e32 v21, v22, v24
	v_mov_b32_e32 v18, 0x3f317218
	s_mov_b32 s0, 0x3f317218
	v_pk_mul_f32 v[18:19], v[20:21], v[18:19]
	v_ldexp_f32 v23, v22, 1
	v_fma_f32 v22, v20, s0, -v18
	v_fmac_f32_e32 v22, 0xb102e308, v20
	v_pk_add_f32 v[20:21], v[18:19], v[22:23]
	v_sub_f32_e32 v23, v21, v23
	v_sub_f32_e32 v23, v19, v23
	v_add_f32_e32 v25, v25, v23
	v_mov_b32_e32 v24, v18
	v_pk_add_f32 v[18:19], v[20:21], v[18:19] neg_lo:[0,1] neg_hi:[0,1]
	v_pk_add_f32 v[52:53], v[20:21], v[24:25]
	v_mov_b32_e32 v19, v53
	v_mov_b32_e32 v23, v20
	v_pk_add_f32 v[54:55], v[22:23], v[18:19] neg_lo:[0,1] neg_hi:[0,1]
	v_pk_add_f32 v[18:19], v[22:23], v[18:19]
	v_mov_b32_e32 v22, v19
	v_pk_add_f32 v[56:57], v[22:23], v[20:21] neg_lo:[0,1] neg_hi:[0,1]
	v_mov_b32_e32 v23, v56
	v_pk_add_f32 v[62:63], v[52:53], v[22:23] neg_lo:[0,1] neg_hi:[0,1]
	v_mov_b32_e32 v18, v53
	v_mov_b32_e32 v52, v21
	;; [unrolled: 1-line block ×4, first 2 shown]
	v_pk_add_f32 v[18:19], v[18:19], v[52:53] neg_lo:[0,1] neg_hi:[0,1]
	v_mov_b32_e32 v24, v25
	v_mov_b32_e32 v25, v20
	v_pk_add_f32 v[18:19], v[24:25], v[18:19] neg_lo:[0,1] neg_hi:[0,1]
	v_mov_b32_e32 v62, v54
	v_pk_add_f32 v[20:21], v[62:63], v[18:19]
	v_mov_b32_e32 v24, v21
	v_pk_add_f32 v[24:25], v[20:21], v[24:25]
	v_pk_add_f32 v[22:23], v[22:23], v[24:25]
	v_mov_b32_e32 v21, v22
	v_pk_add_f32 v[52:53], v[20:21], v[54:55] neg_lo:[0,1] neg_hi:[0,1]
	v_mov_b32_e32 v19, v24
	v_sub_f32_e32 v20, v20, v52
	v_pk_add_f32 v[18:19], v[18:19], v[52:53] neg_lo:[0,1] neg_hi:[0,1]
	v_sub_f32_e32 v20, v54, v20
	v_add_f32_e32 v18, v18, v20
	v_cmp_eq_f32_e64 s[0:1], s2, v58
	s_mov_b32 s2, 0x33800000
	v_add_f32_e32 v18, v18, v19
	v_cmp_gt_f32_e64 s[2:3], s2, v58
	v_add_f32_e32 v18, v22, v18
	s_or_b64 s[0:1], s[2:3], s[0:1]
	v_cndmask_b32_e64 v58, v18, v58, s[0:1]
.LBB6_12:
	s_or_b64 exec, exec, s[4:5]
	v_mov_b32_e32 v18, s21
	v_add_co_u32_e64 v50, s[0:1], s20, v50
	v_addc_co_u32_e64 v51, s[0:1], v51, v18, s[0:1]
	global_load_dword v60, v[50:51], off
	v_pk_mul_f32 v[56:57], v[58:59], v[14:15] op_sel_hi:[0,1]
	s_mov_b32 s4, 0x3fb8aa3b
	v_mul_f32_e32 v80, 0x3fb8aa3b, v57
	v_pk_mul_f32 v[76:77], v[58:59], v[16:17] op_sel_hi:[0,1]
	v_mul_f32_e32 v81, 0x3fb8aa3b, v56
	v_fma_f32 v85, v57, s4, -v80
	v_rndne_f32_e32 v89, v80
	v_mul_f32_e32 v82, 0x3fb8aa3b, v77
	v_fma_f32 v86, v56, s4, -v81
	v_rndne_f32_e32 v90, v81
	v_fmac_f32_e32 v85, 0x32a5705f, v57
	v_sub_f32_e32 v80, v80, v89
	v_mul_f32_e32 v83, 0x3fb8aa3b, v76
	v_fma_f32 v87, v77, s4, -v82
	v_rndne_f32_e32 v91, v82
	v_fmac_f32_e32 v86, 0x32a5705f, v56
	v_sub_f32_e32 v81, v81, v90
	v_add_f32_e32 v80, v80, v85
	v_fma_f32 v88, v76, s4, -v83
	v_rndne_f32_e32 v92, v83
	v_fmac_f32_e32 v87, 0x32a5705f, v77
	v_sub_f32_e32 v82, v82, v91
	v_cvt_i32_f32_e32 v89, v89
	v_add_f32_e32 v81, v81, v86
	v_exp_f32_e32 v80, v80
	v_fmac_f32_e32 v88, 0x32a5705f, v76
	v_cvt_i32_f32_e32 v90, v90
	v_sub_f32_e32 v83, v83, v92
	v_add_f32_e32 v82, v82, v87
	v_exp_f32_e32 v81, v81
	v_cvt_i32_f32_e32 v91, v91
	v_add_f32_e32 v83, v83, v88
	v_exp_f32_e32 v82, v82
	s_mov_b32 s2, 0xc2ce8ed0
	v_cvt_i32_f32_e32 v92, v92
	v_exp_f32_e32 v83, v83
	v_ldexp_f32 v80, v80, v89
	v_cmp_ngt_f32_e64 s[0:1], s2, v57
	v_ldexp_f32 v81, v81, v90
	v_cndmask_b32_e64 v80, 0, v80, s[0:1]
	v_cmp_ngt_f32_e64 s[0:1], s2, v56
	v_ldexp_f32 v82, v82, v91
	v_cndmask_b32_e64 v81, 0, v81, s[0:1]
	v_cmp_ngt_f32_e64 s[0:1], s2, v77
	s_mov_b32 s3, 0x42b17218
	v_ldexp_f32 v83, v83, v92
	v_cndmask_b32_e64 v82, 0, v82, s[0:1]
	v_cmp_ngt_f32_e64 s[0:1], s2, v76
	v_mov_b32_e32 v63, 0
	v_mov_b32_e32 v62, 0x7f800000
	v_cndmask_b32_e64 v83, 0, v83, s[0:1]
	v_cmp_nlt_f32_e64 s[0:1], s3, v57
	v_pk_mul_f32 v[78:79], v[58:59], v[10:11] op_sel_hi:[0,1]
	ds_read_b128 v[52:55], v63
	ds_read_b128 v[64:67], v63 offset:16
	ds_read_b128 v[22:25], v63 offset:32
	;; [unrolled: 1-line block ×3, first 2 shown]
	v_cndmask_b32_e64 v57, v62, v80, s[0:1]
	v_cmp_nlt_f32_e64 s[0:1], s3, v56
	v_mul_f32_e32 v84, 0x3fb8aa3b, v79
	v_cndmask_b32_e64 v56, v62, v81, s[0:1]
	v_cmp_nlt_f32_e64 s[0:1], s3, v77
	v_fma_f32 v93, v79, s4, -v84
	v_rndne_f32_e32 v94, v84
	v_cndmask_b32_e64 v77, v62, v82, s[0:1]
	v_cmp_nlt_f32_e64 s[0:1], s3, v76
	v_fmac_f32_e32 v93, 0x32a5705f, v79
	v_sub_f32_e32 v84, v84, v94
	v_cndmask_b32_e64 v76, v62, v83, s[0:1]
	v_add_f32_e32 v84, v84, v93
	v_cvt_i32_f32_e32 v94, v94
	v_exp_f32_e32 v84, v84
	ds_read_b128 v[68:71], v63 offset:64
	ds_read_b128 v[72:75], v63 offset:80
	v_cmp_ngt_f32_e64 s[0:1], s2, v79
	s_waitcnt vmcnt(0)
	v_mul_f32_e32 v60, v58, v60
	s_waitcnt lgkmcnt(5)
	v_pk_mul_f32 v[52:53], v[60:61], v[52:53] op_sel_hi:[0,1]
	v_pk_mul_f32 v[54:55], v[60:61], v[54:55] op_sel_hi:[0,1]
	v_pk_fma_f32 v[26:27], v[26:27], v[56:57], v[52:53]
	v_mul_f32_e32 v53, 0x3fb8aa3b, v78
	v_pk_fma_f32 v[28:29], v[28:29], v[76:77], v[54:55]
	v_fma_f32 v54, v78, s4, -v53
	v_rndne_f32_e32 v55, v53
	v_fmac_f32_e32 v54, 0x32a5705f, v78
	v_sub_f32_e32 v53, v53, v55
	v_add_f32_e32 v53, v53, v54
	v_exp_f32_e32 v54, v53
	v_cvt_i32_f32_e32 v55, v55
	v_ldexp_f32 v52, v84, v94
	v_cndmask_b32_e64 v52, 0, v52, s[0:1]
	v_cmp_nlt_f32_e64 s[0:1], s3, v79
	v_cndmask_b32_e64 v53, v62, v52, s[0:1]
	v_ldexp_f32 v52, v54, v55
	v_cmp_ngt_f32_e64 s[0:1], s2, v78
	v_pk_mul_f32 v[56:57], v[58:59], v[12:13] op_sel_hi:[0,1]
	v_cndmask_b32_e64 v52, 0, v52, s[0:1]
	v_cmp_nlt_f32_e64 s[0:1], s3, v78
	s_waitcnt lgkmcnt(4)
	v_pk_mul_f32 v[54:55], v[60:61], v[64:65] op_sel_hi:[0,1]
	v_mul_f32_e32 v64, 0x3fb8aa3b, v57
	s_waitcnt lgkmcnt(1)
	v_fma_f32 v76, v68, v26, 0
	v_cndmask_b32_e64 v52, v62, v52, s[0:1]
	v_fma_f32 v65, v57, s4, -v64
	v_rndne_f32_e32 v68, v64
	v_fmac_f32_e32 v65, 0x32a5705f, v57
	v_sub_f32_e32 v64, v64, v68
	v_pk_fma_f32 v[52:53], v[30:31], v[52:53], v[54:55]
	v_mul_f32_e32 v31, 0x3fb8aa3b, v56
	v_add_f32_e32 v64, v64, v65
	v_fma_f32 v54, v56, s4, -v31
	v_rndne_f32_e32 v55, v31
	v_exp_f32_e32 v64, v64
	v_cvt_i32_f32_e32 v65, v68
	v_fmac_f32_e32 v54, 0x32a5705f, v56
	v_sub_f32_e32 v31, v31, v55
	v_add_f32_e32 v31, v31, v54
	v_exp_f32_e32 v54, v31
	v_cvt_i32_f32_e32 v55, v55
	v_ldexp_f32 v30, v64, v65
	v_cmp_ngt_f32_e64 s[0:1], s2, v57
	v_cndmask_b32_e64 v30, 0, v30, s[0:1]
	v_cmp_nlt_f32_e64 s[0:1], s3, v57
	v_cndmask_b32_e64 v31, v62, v30, s[0:1]
	v_ldexp_f32 v30, v54, v55
	v_cmp_ngt_f32_e64 s[0:1], s2, v56
	v_cndmask_b32_e64 v30, 0, v30, s[0:1]
	v_cmp_nlt_f32_e64 s[0:1], s3, v56
	v_pk_mul_f32 v[56:57], v[58:59], v[6:7] op_sel_hi:[0,1]
	v_mul_f32_e32 v64, 0x3fb8aa3b, v57
	v_cndmask_b32_e64 v30, v62, v30, s[0:1]
	v_pk_mul_f32 v[54:55], v[60:61], v[66:67] op_sel_hi:[0,1]
	v_fma_f32 v65, v57, s4, -v64
	v_rndne_f32_e32 v66, v64
	v_fmac_f32_e32 v65, 0x32a5705f, v57
	v_sub_f32_e32 v64, v64, v66
	v_pk_fma_f32 v[32:33], v[32:33], v[30:31], v[54:55]
	v_mul_f32_e32 v31, 0x3fb8aa3b, v56
	v_add_f32_e32 v64, v64, v65
	v_fma_f32 v54, v56, s4, -v31
	v_rndne_f32_e32 v55, v31
	v_exp_f32_e32 v64, v64
	v_cvt_i32_f32_e32 v65, v66
	v_fmac_f32_e32 v54, 0x32a5705f, v56
	v_sub_f32_e32 v31, v31, v55
	v_add_f32_e32 v31, v31, v54
	v_exp_f32_e32 v54, v31
	v_cvt_i32_f32_e32 v55, v55
	v_ldexp_f32 v30, v64, v65
	v_cmp_ngt_f32_e64 s[0:1], s2, v57
	v_cndmask_b32_e64 v30, 0, v30, s[0:1]
	v_cmp_nlt_f32_e64 s[0:1], s3, v57
	v_cndmask_b32_e64 v31, v62, v30, s[0:1]
	v_ldexp_f32 v30, v54, v55
	v_cmp_ngt_f32_e64 s[0:1], s2, v56
	v_cndmask_b32_e64 v30, 0, v30, s[0:1]
	v_cmp_nlt_f32_e64 s[0:1], s3, v56
	v_cndmask_b32_e64 v30, v62, v30, s[0:1]
	v_pk_mul_f32 v[22:23], v[60:61], v[22:23] op_sel_hi:[0,1]
	v_pk_fma_f32 v[54:55], v[40:41], v[30:31], v[22:23]
	v_pk_mul_f32 v[22:23], v[58:59], v[8:9] op_sel_hi:[0,1]
	v_mul_f32_e32 v30, 0x3fb8aa3b, v23
	v_fma_f32 v31, v23, s4, -v30
	v_rndne_f32_e32 v40, v30
	v_fmac_f32_e32 v31, 0x32a5705f, v23
	v_sub_f32_e32 v30, v30, v40
	v_add_f32_e32 v30, v30, v31
	v_exp_f32_e32 v30, v30
	v_cvt_i32_f32_e32 v31, v40
	v_cmp_ngt_f32_e64 s[0:1], s2, v23
	v_pk_mul_f32 v[24:25], v[60:61], v[24:25] op_sel_hi:[0,1]
	v_fmac_f32_e32 v76, v69, v27
	v_ldexp_f32 v30, v30, v31
	v_mul_f32_e32 v31, 0x3fb8aa3b, v22
	v_fma_f32 v40, v22, s4, -v31
	v_rndne_f32_e32 v41, v31
	v_fmac_f32_e32 v40, 0x32a5705f, v22
	v_sub_f32_e32 v31, v31, v41
	v_add_f32_e32 v31, v31, v40
	v_exp_f32_e32 v31, v31
	v_cvt_i32_f32_e32 v40, v41
	v_cndmask_b32_e64 v30, 0, v30, s[0:1]
	v_cmp_nlt_f32_e64 s[0:1], s3, v23
	v_cndmask_b32_e64 v23, v62, v30, s[0:1]
	v_ldexp_f32 v30, v31, v40
	v_cmp_ngt_f32_e64 s[0:1], s2, v22
	v_cndmask_b32_e64 v30, 0, v30, s[0:1]
	v_cmp_nlt_f32_e64 s[0:1], s3, v22
	v_cndmask_b32_e64 v22, v62, v30, s[0:1]
	v_pk_mul_f32 v[30:31], v[58:59], v[2:3] op_sel_hi:[0,1]
	v_mul_f32_e32 v40, 0x3fb8aa3b, v31
	v_fma_f32 v41, v31, s4, -v40
	v_rndne_f32_e32 v56, v40
	v_fmac_f32_e32 v41, 0x32a5705f, v31
	v_sub_f32_e32 v40, v40, v56
	v_add_f32_e32 v40, v40, v41
	v_cvt_i32_f32_e32 v41, v56
	v_pk_fma_f32 v[56:57], v[42:43], v[22:23], v[24:25]
	v_mul_f32_e32 v23, 0x3fb8aa3b, v30
	v_fma_f32 v24, v30, s4, -v23
	v_rndne_f32_e32 v25, v23
	v_exp_f32_e32 v40, v40
	v_fmac_f32_e32 v24, 0x32a5705f, v30
	v_sub_f32_e32 v23, v23, v25
	v_add_f32_e32 v23, v23, v24
	v_exp_f32_e32 v24, v23
	v_cvt_i32_f32_e32 v25, v25
	v_ldexp_f32 v22, v40, v41
	v_cmp_ngt_f32_e64 s[0:1], s2, v31
	v_cndmask_b32_e64 v22, 0, v22, s[0:1]
	v_cmp_nlt_f32_e64 s[0:1], s3, v31
	v_cndmask_b32_e64 v23, v62, v22, s[0:1]
	v_ldexp_f32 v22, v24, v25
	v_cmp_ngt_f32_e64 s[0:1], s2, v30
	v_pk_mul_f32 v[24:25], v[58:59], v[4:5] op_sel_hi:[0,1]
	v_cndmask_b32_e64 v22, 0, v22, s[0:1]
	v_cmp_nlt_f32_e64 s[0:1], s3, v30
	v_mul_f32_e32 v30, 0x3fb8aa3b, v25
	v_cndmask_b32_e64 v22, v62, v22, s[0:1]
	v_pk_mul_f32 v[18:19], v[60:61], v[18:19] op_sel_hi:[0,1]
	v_fma_f32 v31, v25, s4, -v30
	v_rndne_f32_e32 v40, v30
	v_fmac_f32_e32 v76, v70, v28
	v_fmac_f32_e32 v31, 0x32a5705f, v25
	v_sub_f32_e32 v30, v30, v40
	v_pk_fma_f32 v[44:45], v[44:45], v[22:23], v[18:19]
	v_mul_f32_e32 v19, 0x3fb8aa3b, v24
	v_fmac_f32_e32 v76, v71, v29
	ds_read_b128 v[64:67], v63 offset:96
	ds_read_b128 v[68:71], v63 offset:112
	v_add_f32_e32 v30, v30, v31
	v_fma_f32 v22, v24, s4, -v19
	v_rndne_f32_e32 v23, v19
	s_waitcnt lgkmcnt(2)
	v_fmac_f32_e32 v76, v72, v52
	v_exp_f32_e32 v30, v30
	v_cvt_i32_f32_e32 v31, v40
	v_fmac_f32_e32 v22, 0x32a5705f, v24
	v_sub_f32_e32 v19, v19, v23
	v_fmac_f32_e32 v76, v73, v53
	v_add_f32_e32 v19, v19, v22
	v_fmac_f32_e32 v76, v74, v32
	v_exp_f32_e32 v22, v19
	v_cvt_i32_f32_e32 v23, v23
	v_fmac_f32_e32 v76, v75, v33
	s_waitcnt lgkmcnt(1)
	v_fmac_f32_e32 v76, v64, v54
	v_ldexp_f32 v18, v30, v31
	v_cmp_ngt_f32_e64 s[0:1], s2, v25
	v_fmac_f32_e32 v76, v65, v55
	v_cndmask_b32_e64 v18, 0, v18, s[0:1]
	v_cmp_nlt_f32_e64 s[0:1], s3, v25
	v_fmac_f32_e32 v76, v66, v56
	v_cndmask_b32_e64 v19, v62, v18, s[0:1]
	v_ldexp_f32 v18, v22, v23
	v_cmp_ngt_f32_e64 s[0:1], s2, v24
	v_fmac_f32_e32 v76, v67, v57
	v_cndmask_b32_e64 v18, 0, v18, s[0:1]
	v_cmp_nlt_f32_e64 s[0:1], s3, v24
	s_waitcnt lgkmcnt(0)
	v_fmac_f32_e32 v76, v68, v44
	v_cndmask_b32_e64 v18, v62, v18, s[0:1]
	v_pk_mul_f32 v[20:21], v[60:61], v[20:21] op_sel_hi:[0,1]
	v_fmac_f32_e32 v76, v69, v45
	v_pk_fma_f32 v[46:47], v[46:47], v[18:19], v[20:21]
	s_ashr_i64 s[0:1], s[16:17], 29
	v_fmac_f32_e32 v76, v70, v46
	v_mov_b32_e32 v19, s1
	v_add_co_u32_e64 v18, s[0:1], s0, v38
	v_fmac_f32_e32 v76, v71, v47
	v_addc_co_u32_e64 v19, s[0:1], v39, v19, s[0:1]
	global_store_dword v[18:19], v76, off
	s_barrier
	s_and_saveexec_b64 s[0:1], vcc
	s_cbranch_execz .LBB6_14
; %bb.13:
	v_mad_i64_i32 v[18:19], s[2:3], s8, 12, v[36:37]
	global_load_dword v20, v[18:19], off
	v_mad_i64_i32 v[18:19], s[2:3], s10, 12, v[0:1]
	global_load_dword v18, v[18:19], off
	s_waitcnt vmcnt(1)
	ds_write_b32 v59, v20
	s_waitcnt vmcnt(0)
	ds_write_b32 v61, v18
.LBB6_14:
	s_or_b64 exec, exec, s[0:1]
	v_mov_b32_e32 v18, s19
	v_add_co_u32_e64 v42, s[0:1], s18, v48
	v_addc_co_u32_e64 v43, s[0:1], v49, v18, s[0:1]
	s_waitcnt lgkmcnt(0)
	s_barrier
	global_load_dword v58, v[42:43], off
	s_mov_b32 s0, 0x41a00000
	s_waitcnt vmcnt(0)
	v_cmp_ge_f32_e64 s[0:1], s0, v58
	s_and_saveexec_b64 s[4:5], s[0:1]
	s_cbranch_execz .LBB6_16
; %bb.15:
	v_mul_f32_e32 v18, 0x3fb8aa3b, v58
	s_mov_b32 s0, 0x3fb8aa3b
	v_rndne_f32_e32 v19, v18
	v_sub_f32_e32 v20, v18, v19
	v_fma_f32 v18, v58, s0, -v18
	v_fmac_f32_e32 v18, 0x32a5705f, v58
	v_add_f32_e32 v18, v20, v18
	v_exp_f32_e32 v18, v18
	v_cvt_i32_f32_e32 v19, v19
	s_mov_b32 s0, 0xc2ce8ed0
	v_cmp_ngt_f32_e64 s[0:1], s0, v58
	s_mov_b32 s2, 0x7f800000
	v_ldexp_f32 v18, v18, v19
	v_cndmask_b32_e64 v18, 0, v18, s[0:1]
	s_mov_b32 s0, 0x42b17218
	v_mov_b32_e32 v19, 0x7f800000
	v_cmp_nlt_f32_e64 s[0:1], s0, v58
	v_cndmask_b32_e64 v58, v19, v18, s[0:1]
	v_add_f32_e32 v20, 1.0, v58
	v_add_f32_e32 v18, -1.0, v20
	v_sub_f32_e32 v19, v18, v20
	v_add_f32_e32 v19, 1.0, v19
	v_sub_f32_e32 v18, v58, v18
	v_add_f32_e32 v21, v18, v19
	v_frexp_mant_f32_e32 v22, v20
	s_mov_b32 s0, 0x3f2aaaab
	v_cvt_f64_f32_e32 v[18:19], v20
	v_frexp_exp_i32_f64_e32 v18, v[18:19]
	v_cmp_gt_f32_e64 s[0:1], s0, v22
	v_subbrev_co_u32_e64 v30, s[0:1], 0, v18, s[0:1]
	v_sub_u32_e32 v18, 0, v30
	v_ldexp_f32 v19, v20, v18
	v_add_f32_e32 v20, -1.0, v19
	v_add_f32_e32 v22, 1.0, v19
	v_ldexp_f32 v18, v21, v18
	v_add_f32_e32 v21, 1.0, v20
	v_add_f32_e32 v23, -1.0, v22
	v_sub_f32_e32 v21, v19, v21
	v_sub_f32_e32 v19, v19, v23
	v_add_f32_e32 v21, v18, v21
	v_add_f32_e32 v18, v18, v19
	;; [unrolled: 1-line block ×3, first 2 shown]
	v_rcp_f32_e32 v41, v31
	v_sub_f32_e32 v19, v22, v31
	v_add_f32_e32 v40, v18, v19
	v_add_f32_e32 v19, v20, v21
	v_mul_f32_e32 v49, v19, v41
	v_sub_f32_e32 v18, v20, v19
	v_mul_f32_e32 v20, v31, v49
	v_fma_f32 v22, v49, v31, -v20
	v_fmac_f32_e32 v22, v49, v40
	v_add_f32_e32 v48, v21, v18
	v_add_f32_e32 v18, v20, v22
	v_sub_f32_e32 v21, v19, v18
	v_pk_add_f32 v[24:25], v[18:19], v[20:21] neg_lo:[0,1] neg_hi:[0,1]
	v_mov_b32_e32 v23, v18
	v_pk_add_f32 v[18:19], v[24:25], v[22:23] neg_lo:[0,1] neg_hi:[0,1]
	v_add_f32_e32 v19, v48, v19
	v_add_f32_e32 v18, v18, v19
	v_add_f32_e32 v19, v21, v18
	v_mul_f32_e32 v48, v41, v19
	v_mul_f32_e32 v20, v31, v48
	v_fma_f32 v22, v48, v31, -v20
	v_fmac_f32_e32 v22, v48, v40
	v_sub_f32_e32 v21, v21, v19
	v_add_f32_e32 v31, v18, v21
	v_add_f32_e32 v18, v20, v22
	v_sub_f32_e32 v21, v19, v18
	v_pk_add_f32 v[24:25], v[18:19], v[20:21] neg_lo:[0,1] neg_hi:[0,1]
	v_mov_b32_e32 v23, v18
	v_pk_add_f32 v[18:19], v[24:25], v[22:23] neg_lo:[0,1] neg_hi:[0,1]
	v_add_f32_e32 v19, v31, v19
	v_add_f32_e32 v18, v18, v19
	;; [unrolled: 1-line block ×4, first 2 shown]
	v_sub_f32_e32 v19, v21, v49
	v_mul_f32_e32 v18, v41, v18
	v_sub_f32_e32 v19, v48, v19
	v_add_f32_e32 v18, v19, v18
	v_add_f32_e32 v22, v21, v18
	v_mul_f32_e32 v24, v22, v22
	v_mov_b32_e32 v20, 0x3ecc95a3
	v_fmac_f32_e32 v20, 0x3e9b6dac, v24
	v_mov_b32_e32 v19, 0x3f2aaada
	v_fmac_f32_e32 v19, v24, v20
	v_cvt_f32_i32_e32 v20, v30
	v_sub_f32_e32 v21, v22, v21
	v_sub_f32_e32 v18, v18, v21
	v_ldexp_f32 v25, v18, 1
	v_mul_f32_e32 v21, v22, v24
	v_mov_b32_e32 v18, 0x3f317218
	s_mov_b32 s0, 0x3f317218
	v_pk_mul_f32 v[18:19], v[20:21], v[18:19]
	v_ldexp_f32 v23, v22, 1
	v_fma_f32 v22, v20, s0, -v18
	v_fmac_f32_e32 v22, 0xb102e308, v20
	v_pk_add_f32 v[20:21], v[18:19], v[22:23]
	v_sub_f32_e32 v23, v21, v23
	v_sub_f32_e32 v23, v19, v23
	v_add_f32_e32 v25, v25, v23
	v_mov_b32_e32 v24, v18
	v_pk_add_f32 v[18:19], v[20:21], v[18:19] neg_lo:[0,1] neg_hi:[0,1]
	v_pk_add_f32 v[30:31], v[20:21], v[24:25]
	v_mov_b32_e32 v19, v31
	v_mov_b32_e32 v23, v20
	v_pk_add_f32 v[40:41], v[22:23], v[18:19] neg_lo:[0,1] neg_hi:[0,1]
	v_pk_add_f32 v[18:19], v[22:23], v[18:19]
	v_mov_b32_e32 v22, v19
	v_pk_add_f32 v[48:49], v[22:23], v[20:21] neg_lo:[0,1] neg_hi:[0,1]
	v_mov_b32_e32 v23, v48
	v_pk_add_f32 v[62:63], v[30:31], v[22:23] neg_lo:[0,1] neg_hi:[0,1]
	v_mov_b32_e32 v18, v31
	v_mov_b32_e32 v30, v21
	;; [unrolled: 1-line block ×4, first 2 shown]
	v_pk_add_f32 v[18:19], v[18:19], v[30:31] neg_lo:[0,1] neg_hi:[0,1]
	v_mov_b32_e32 v24, v25
	v_mov_b32_e32 v25, v20
	v_pk_add_f32 v[18:19], v[24:25], v[18:19] neg_lo:[0,1] neg_hi:[0,1]
	v_mov_b32_e32 v62, v40
	v_pk_add_f32 v[20:21], v[62:63], v[18:19]
	v_mov_b32_e32 v24, v21
	v_pk_add_f32 v[24:25], v[20:21], v[24:25]
	v_pk_add_f32 v[22:23], v[22:23], v[24:25]
	v_mov_b32_e32 v21, v22
	v_pk_add_f32 v[30:31], v[20:21], v[40:41] neg_lo:[0,1] neg_hi:[0,1]
	v_mov_b32_e32 v19, v24
	v_sub_f32_e32 v20, v20, v30
	v_pk_add_f32 v[18:19], v[18:19], v[30:31] neg_lo:[0,1] neg_hi:[0,1]
	v_sub_f32_e32 v20, v40, v20
	v_add_f32_e32 v18, v18, v20
	v_cmp_eq_f32_e64 s[0:1], s2, v58
	s_mov_b32 s2, 0x33800000
	v_add_f32_e32 v18, v18, v19
	v_cmp_gt_f32_e64 s[2:3], s2, v58
	v_add_f32_e32 v18, v22, v18
	s_or_b64 s[0:1], s[2:3], s[0:1]
	v_cndmask_b32_e64 v58, v18, v58, s[0:1]
.LBB6_16:
	s_or_b64 exec, exec, s[4:5]
	v_mov_b32_e32 v18, s21
	v_add_co_u32_e64 v40, s[0:1], s20, v50
	v_addc_co_u32_e64 v41, s[0:1], v51, v18, s[0:1]
	global_load_dword v50, v[40:41], off
	v_pk_mul_f32 v[30:31], v[58:59], v[14:15] op_sel_hi:[0,1]
	s_mov_b32 s4, 0x3fb8aa3b
	v_mul_f32_e32 v80, 0x3fb8aa3b, v31
	v_pk_mul_f32 v[48:49], v[58:59], v[16:17] op_sel_hi:[0,1]
	v_mul_f32_e32 v81, 0x3fb8aa3b, v30
	v_fma_f32 v85, v31, s4, -v80
	v_rndne_f32_e32 v89, v80
	v_mul_f32_e32 v82, 0x3fb8aa3b, v49
	v_fma_f32 v86, v30, s4, -v81
	v_rndne_f32_e32 v90, v81
	v_fmac_f32_e32 v85, 0x32a5705f, v31
	v_sub_f32_e32 v80, v80, v89
	v_mul_f32_e32 v83, 0x3fb8aa3b, v48
	v_fma_f32 v87, v49, s4, -v82
	v_rndne_f32_e32 v91, v82
	v_fmac_f32_e32 v86, 0x32a5705f, v30
	v_sub_f32_e32 v81, v81, v90
	v_add_f32_e32 v80, v80, v85
	v_fma_f32 v88, v48, s4, -v83
	v_rndne_f32_e32 v92, v83
	v_fmac_f32_e32 v87, 0x32a5705f, v49
	v_cvt_i32_f32_e32 v89, v89
	v_sub_f32_e32 v82, v82, v91
	v_add_f32_e32 v81, v81, v86
	v_exp_f32_e32 v80, v80
	v_fmac_f32_e32 v88, 0x32a5705f, v48
	v_cvt_i32_f32_e32 v90, v90
	v_sub_f32_e32 v83, v83, v92
	v_add_f32_e32 v82, v82, v87
	v_exp_f32_e32 v81, v81
	v_cvt_i32_f32_e32 v91, v91
	v_add_f32_e32 v83, v83, v88
	v_exp_f32_e32 v82, v82
	s_mov_b32 s2, 0xc2ce8ed0
	v_cvt_i32_f32_e32 v92, v92
	v_exp_f32_e32 v83, v83
	v_ldexp_f32 v80, v80, v89
	v_cmp_ngt_f32_e64 s[0:1], s2, v31
	v_ldexp_f32 v81, v81, v90
	v_cndmask_b32_e64 v80, 0, v80, s[0:1]
	v_cmp_ngt_f32_e64 s[0:1], s2, v30
	v_ldexp_f32 v82, v82, v91
	v_cndmask_b32_e64 v81, 0, v81, s[0:1]
	v_cmp_ngt_f32_e64 s[0:1], s2, v49
	s_mov_b32 s3, 0x42b17218
	v_ldexp_f32 v83, v83, v92
	v_cndmask_b32_e64 v82, 0, v82, s[0:1]
	v_cmp_ngt_f32_e64 s[0:1], s2, v48
	v_mov_b32_e32 v60, 0
	v_mov_b32_e32 v51, 0x7f800000
	v_cndmask_b32_e64 v83, 0, v83, s[0:1]
	v_cmp_nlt_f32_e64 s[0:1], s3, v31
	v_pk_mul_f32 v[78:79], v[58:59], v[10:11] op_sel_hi:[0,1]
	ds_read_b128 v[62:65], v60
	ds_read_b128 v[66:69], v60 offset:16
	ds_read_b128 v[22:25], v60 offset:32
	;; [unrolled: 1-line block ×3, first 2 shown]
	v_cndmask_b32_e64 v31, v51, v80, s[0:1]
	v_cmp_nlt_f32_e64 s[0:1], s3, v30
	v_mul_f32_e32 v84, 0x3fb8aa3b, v79
	v_cndmask_b32_e64 v30, v51, v81, s[0:1]
	v_cmp_nlt_f32_e64 s[0:1], s3, v49
	v_fma_f32 v93, v79, s4, -v84
	v_rndne_f32_e32 v94, v84
	v_cndmask_b32_e64 v81, v51, v82, s[0:1]
	v_cmp_nlt_f32_e64 s[0:1], s3, v48
	v_fmac_f32_e32 v93, 0x32a5705f, v79
	v_sub_f32_e32 v84, v84, v94
	v_cndmask_b32_e64 v80, v51, v83, s[0:1]
	v_add_f32_e32 v84, v84, v93
	v_cvt_i32_f32_e32 v94, v94
	v_exp_f32_e32 v84, v84
	v_cmp_ngt_f32_e64 s[0:1], s2, v79
	ds_read_b128 v[70:73], v60 offset:64
	ds_read_b128 v[74:77], v60 offset:80
	s_waitcnt vmcnt(0)
	v_mul_f32_e32 v50, v58, v50
	s_waitcnt lgkmcnt(5)
	v_pk_mul_f32 v[48:49], v[50:51], v[62:63] op_sel_hi:[0,1]
	v_pk_mul_f32 v[62:63], v[50:51], v[64:65] op_sel_hi:[0,1]
	v_pk_fma_f32 v[48:49], v[26:27], v[30:31], v[48:49]
	v_mul_f32_e32 v27, 0x3fb8aa3b, v78
	v_pk_fma_f32 v[30:31], v[28:29], v[80:81], v[62:63]
	v_fma_f32 v28, v78, s4, -v27
	v_rndne_f32_e32 v29, v27
	v_fmac_f32_e32 v28, 0x32a5705f, v78
	v_sub_f32_e32 v27, v27, v29
	v_add_f32_e32 v27, v27, v28
	v_exp_f32_e32 v28, v27
	v_cvt_i32_f32_e32 v29, v29
	v_ldexp_f32 v26, v84, v94
	v_cndmask_b32_e64 v26, 0, v26, s[0:1]
	v_cmp_nlt_f32_e64 s[0:1], s3, v79
	v_cndmask_b32_e64 v27, v51, v26, s[0:1]
	v_ldexp_f32 v26, v28, v29
	v_cmp_ngt_f32_e64 s[0:1], s2, v78
	v_pk_mul_f32 v[62:63], v[58:59], v[12:13] op_sel_hi:[0,1]
	v_cndmask_b32_e64 v26, 0, v26, s[0:1]
	v_cmp_nlt_f32_e64 s[0:1], s3, v78
	v_mul_f32_e32 v64, 0x3fb8aa3b, v63
	v_cndmask_b32_e64 v26, v51, v26, s[0:1]
	s_waitcnt lgkmcnt(4)
	v_pk_mul_f32 v[28:29], v[50:51], v[66:67] op_sel_hi:[0,1]
	v_fma_f32 v65, v63, s4, -v64
	v_rndne_f32_e32 v66, v64
	v_fmac_f32_e32 v65, 0x32a5705f, v63
	v_sub_f32_e32 v64, v64, v66
	v_pk_fma_f32 v[26:27], v[52:53], v[26:27], v[28:29]
	v_mul_f32_e32 v29, 0x3fb8aa3b, v62
	v_add_f32_e32 v64, v64, v65
	v_fma_f32 v52, v62, s4, -v29
	v_rndne_f32_e32 v53, v29
	v_exp_f32_e32 v64, v64
	v_cvt_i32_f32_e32 v65, v66
	v_fmac_f32_e32 v52, 0x32a5705f, v62
	v_sub_f32_e32 v29, v29, v53
	v_add_f32_e32 v29, v29, v52
	v_exp_f32_e32 v52, v29
	v_cvt_i32_f32_e32 v53, v53
	v_ldexp_f32 v28, v64, v65
	v_cmp_ngt_f32_e64 s[0:1], s2, v63
	v_cndmask_b32_e64 v28, 0, v28, s[0:1]
	v_cmp_nlt_f32_e64 s[0:1], s3, v63
	v_cndmask_b32_e64 v29, v51, v28, s[0:1]
	v_ldexp_f32 v28, v52, v53
	v_cmp_ngt_f32_e64 s[0:1], s2, v62
	v_cndmask_b32_e64 v28, 0, v28, s[0:1]
	v_cmp_nlt_f32_e64 s[0:1], s3, v62
	v_pk_mul_f32 v[62:63], v[58:59], v[6:7] op_sel_hi:[0,1]
	v_mul_f32_e32 v64, 0x3fb8aa3b, v63
	v_cndmask_b32_e64 v28, v51, v28, s[0:1]
	v_pk_mul_f32 v[52:53], v[50:51], v[68:69] op_sel_hi:[0,1]
	v_fma_f32 v65, v63, s4, -v64
	v_rndne_f32_e32 v66, v64
	v_fmac_f32_e32 v65, 0x32a5705f, v63
	v_sub_f32_e32 v64, v64, v66
	v_pk_fma_f32 v[28:29], v[32:33], v[28:29], v[52:53]
	v_mul_f32_e32 v33, 0x3fb8aa3b, v62
	v_add_f32_e32 v64, v64, v65
	v_fma_f32 v52, v62, s4, -v33
	v_rndne_f32_e32 v53, v33
	v_exp_f32_e32 v64, v64
	v_cvt_i32_f32_e32 v65, v66
	v_fmac_f32_e32 v52, 0x32a5705f, v62
	v_sub_f32_e32 v33, v33, v53
	v_add_f32_e32 v33, v33, v52
	v_exp_f32_e32 v52, v33
	v_cvt_i32_f32_e32 v53, v53
	v_ldexp_f32 v32, v64, v65
	v_cmp_ngt_f32_e64 s[0:1], s2, v63
	v_cndmask_b32_e64 v32, 0, v32, s[0:1]
	v_cmp_nlt_f32_e64 s[0:1], s3, v63
	v_cndmask_b32_e64 v33, v51, v32, s[0:1]
	v_ldexp_f32 v32, v52, v53
	v_cmp_ngt_f32_e64 s[0:1], s2, v62
	v_cndmask_b32_e64 v32, 0, v32, s[0:1]
	v_cmp_nlt_f32_e64 s[0:1], s3, v62
	v_cndmask_b32_e64 v32, v51, v32, s[0:1]
	s_waitcnt lgkmcnt(3)
	v_pk_mul_f32 v[22:23], v[50:51], v[22:23] op_sel_hi:[0,1]
	s_waitcnt lgkmcnt(1)
	v_fma_f32 v70, v70, v48, 0
	v_pk_fma_f32 v[22:23], v[54:55], v[32:33], v[22:23]
	v_pk_mul_f32 v[32:33], v[58:59], v[8:9] op_sel_hi:[0,1]
	v_fmac_f32_e32 v70, v71, v49
	v_mul_f32_e32 v52, 0x3fb8aa3b, v33
	v_fmac_f32_e32 v70, v72, v30
	v_rndne_f32_e32 v63, v52
	v_fmac_f32_e32 v70, v73, v31
	v_fma_f32 v62, v33, s4, -v52
	v_sub_f32_e32 v64, v52, v63
	ds_read_b128 v[52:55], v60 offset:96
	s_waitcnt lgkmcnt(1)
	v_fmac_f32_e32 v70, v74, v26
	v_fmac_f32_e32 v62, 0x32a5705f, v33
	;; [unrolled: 1-line block ×3, first 2 shown]
	v_add_f32_e32 v62, v64, v62
	v_fmac_f32_e32 v70, v76, v28
	v_exp_f32_e32 v66, v62
	v_cvt_i32_f32_e32 v67, v63
	ds_read_b128 v[62:65], v60 offset:112
	v_fmac_f32_e32 v70, v77, v29
	s_waitcnt lgkmcnt(1)
	v_fmac_f32_e32 v70, v52, v22
	v_fmac_f32_e32 v70, v53, v23
	v_mul_f32_e32 v53, 0x3fb8aa3b, v32
	v_ldexp_f32 v52, v66, v67
	v_fma_f32 v60, v32, s4, -v53
	v_rndne_f32_e32 v66, v53
	v_fmac_f32_e32 v60, 0x32a5705f, v32
	v_sub_f32_e32 v53, v53, v66
	v_add_f32_e32 v53, v53, v60
	v_exp_f32_e32 v53, v53
	v_cvt_i32_f32_e32 v60, v66
	v_cmp_ngt_f32_e64 s[0:1], s2, v33
	v_cndmask_b32_e64 v52, 0, v52, s[0:1]
	v_cmp_nlt_f32_e64 s[0:1], s3, v33
	v_cndmask_b32_e64 v33, v51, v52, s[0:1]
	v_ldexp_f32 v52, v53, v60
	v_cmp_ngt_f32_e64 s[0:1], s2, v32
	v_cndmask_b32_e64 v52, 0, v52, s[0:1]
	v_cmp_nlt_f32_e64 s[0:1], s3, v32
	v_cndmask_b32_e64 v32, v51, v52, s[0:1]
	v_pk_mul_f32 v[52:53], v[58:59], v[2:3] op_sel_hi:[0,1]
	v_pk_mul_f32 v[24:25], v[50:51], v[24:25] op_sel_hi:[0,1]
	v_mul_f32_e32 v60, 0x3fb8aa3b, v53
	v_fma_f32 v66, v53, s4, -v60
	v_rndne_f32_e32 v67, v60
	v_pk_fma_f32 v[32:33], v[56:57], v[32:33], v[24:25]
	v_fmac_f32_e32 v66, 0x32a5705f, v53
	v_sub_f32_e32 v60, v60, v67
	v_fmac_f32_e32 v70, v54, v32
	v_mul_f32_e32 v25, 0x3fb8aa3b, v52
	v_add_f32_e32 v60, v60, v66
	v_fmac_f32_e32 v70, v55, v33
	v_fma_f32 v54, v52, s4, -v25
	v_rndne_f32_e32 v55, v25
	v_exp_f32_e32 v60, v60
	v_cvt_i32_f32_e32 v66, v67
	v_fmac_f32_e32 v54, 0x32a5705f, v52
	v_sub_f32_e32 v25, v25, v55
	v_add_f32_e32 v25, v25, v54
	v_exp_f32_e32 v54, v25
	v_cvt_i32_f32_e32 v55, v55
	v_ldexp_f32 v24, v60, v66
	v_cmp_ngt_f32_e64 s[0:1], s2, v53
	v_cndmask_b32_e64 v24, 0, v24, s[0:1]
	v_cmp_nlt_f32_e64 s[0:1], s3, v53
	v_cndmask_b32_e64 v25, v51, v24, s[0:1]
	v_ldexp_f32 v24, v54, v55
	v_cmp_ngt_f32_e64 s[0:1], s2, v52
	v_cndmask_b32_e64 v24, 0, v24, s[0:1]
	v_cmp_nlt_f32_e64 s[0:1], s3, v52
	v_pk_mul_f32 v[52:53], v[58:59], v[4:5] op_sel_hi:[0,1]
	v_mul_f32_e32 v54, 0x3fb8aa3b, v53
	v_cndmask_b32_e64 v24, v51, v24, s[0:1]
	v_pk_mul_f32 v[18:19], v[50:51], v[18:19] op_sel_hi:[0,1]
	v_fma_f32 v55, v53, s4, -v54
	v_rndne_f32_e32 v56, v54
	v_fmac_f32_e32 v55, 0x32a5705f, v53
	v_sub_f32_e32 v54, v54, v56
	v_pk_fma_f32 v[24:25], v[44:45], v[24:25], v[18:19]
	v_mul_f32_e32 v19, 0x3fb8aa3b, v52
	v_add_f32_e32 v54, v54, v55
	v_fma_f32 v44, v52, s4, -v19
	v_rndne_f32_e32 v45, v19
	v_exp_f32_e32 v54, v54
	v_cvt_i32_f32_e32 v55, v56
	v_fmac_f32_e32 v44, 0x32a5705f, v52
	v_sub_f32_e32 v19, v19, v45
	v_add_f32_e32 v19, v19, v44
	v_exp_f32_e32 v44, v19
	v_cvt_i32_f32_e32 v45, v45
	v_ldexp_f32 v18, v54, v55
	v_cmp_ngt_f32_e64 s[0:1], s2, v53
	v_cndmask_b32_e64 v18, 0, v18, s[0:1]
	v_cmp_nlt_f32_e64 s[0:1], s3, v53
	v_cndmask_b32_e64 v19, v51, v18, s[0:1]
	v_ldexp_f32 v18, v44, v45
	v_cmp_ngt_f32_e64 s[0:1], s2, v52
	v_cndmask_b32_e64 v18, 0, v18, s[0:1]
	v_cmp_nlt_f32_e64 s[0:1], s3, v52
	s_waitcnt lgkmcnt(0)
	v_fmac_f32_e32 v70, v62, v24
	v_cndmask_b32_e64 v18, v51, v18, s[0:1]
	v_pk_mul_f32 v[20:21], v[50:51], v[20:21] op_sel_hi:[0,1]
	v_fmac_f32_e32 v70, v63, v25
	v_pk_fma_f32 v[20:21], v[46:47], v[18:19], v[20:21]
	v_fmac_f32_e32 v70, v64, v20
	v_fmac_f32_e32 v70, v65, v21
	v_mad_i64_i32 v[18:19], s[0:1], s26, 12, v[38:39]
	global_store_dword v[18:19], v70, off
	s_barrier
	s_and_saveexec_b64 s[0:1], vcc
	s_cbranch_execz .LBB6_18
; %bb.17:
	s_lshl_b64 s[2:3], s[8:9], 4
	v_mov_b32_e32 v19, s3
	v_add_co_u32_e32 v18, vcc, s2, v36
	v_addc_co_u32_e32 v19, vcc, v37, v19, vcc
	s_lshl_b64 s[2:3], s[10:11], 4
	global_load_dword v18, v[18:19], off
	v_mov_b32_e32 v19, s3
	v_add_co_u32_e32 v0, vcc, s2, v0
	v_addc_co_u32_e32 v1, vcc, v1, v19, vcc
	global_load_dword v0, v[0:1], off
	s_waitcnt vmcnt(1)
	ds_write_b32 v59, v18
	s_waitcnt vmcnt(0)
	ds_write_b32 v61, v0
.LBB6_18:
	s_or_b64 exec, exec, s[0:1]
	v_mov_b32_e32 v1, s19
	v_add_co_u32_e32 v0, vcc, s18, v42
	v_addc_co_u32_e32 v1, vcc, v43, v1, vcc
	s_waitcnt lgkmcnt(0)
	s_barrier
	global_load_dword v18, v[0:1], off
	s_mov_b32 s0, 0x41a00000
	s_waitcnt vmcnt(0)
	v_cmp_ge_f32_e32 vcc, s0, v18
	s_and_saveexec_b64 s[2:3], vcc
	s_cbranch_execz .LBB6_20
; %bb.19:
	v_mul_f32_e32 v0, 0x3fb8aa3b, v18
	s_mov_b32 s0, 0x3fb8aa3b
	v_rndne_f32_e32 v1, v0
	v_sub_f32_e32 v19, v0, v1
	v_fma_f32 v0, v18, s0, -v0
	v_fmac_f32_e32 v0, 0x32a5705f, v18
	v_add_f32_e32 v0, v19, v0
	v_exp_f32_e32 v0, v0
	v_cvt_i32_f32_e32 v1, v1
	s_mov_b32 s0, 0xc2ce8ed0
	v_cmp_ngt_f32_e32 vcc, s0, v18
	s_mov_b32 s0, 0x42b17218
	v_ldexp_f32 v0, v0, v1
	v_cndmask_b32_e32 v0, 0, v0, vcc
	v_mov_b32_e32 v1, 0x7f800000
	v_cmp_nlt_f32_e32 vcc, s0, v18
	v_cndmask_b32_e32 v54, v1, v0, vcc
	v_add_f32_e32 v18, 1.0, v54
	v_add_f32_e32 v0, -1.0, v18
	v_sub_f32_e32 v1, v0, v18
	v_add_f32_e32 v1, 1.0, v1
	v_sub_f32_e32 v0, v54, v0
	v_add_f32_e32 v19, v0, v1
	v_frexp_mant_f32_e32 v36, v18
	s_mov_b32 s0, 0x3f2aaaab
	v_cvt_f64_f32_e32 v[0:1], v18
	v_frexp_exp_i32_f64_e32 v0, v[0:1]
	v_cmp_gt_f32_e32 vcc, s0, v36
	v_subbrev_co_u32_e32 v44, vcc, 0, v0, vcc
	v_sub_u32_e32 v0, 0, v44
	v_ldexp_f32 v1, v18, v0
	v_add_f32_e32 v18, -1.0, v1
	v_add_f32_e32 v36, 1.0, v1
	v_ldexp_f32 v0, v19, v0
	v_add_f32_e32 v19, 1.0, v18
	v_add_f32_e32 v37, -1.0, v36
	v_sub_f32_e32 v19, v1, v19
	v_sub_f32_e32 v1, v1, v37
	v_add_f32_e32 v19, v0, v19
	v_add_f32_e32 v0, v0, v1
	;; [unrolled: 1-line block ×3, first 2 shown]
	v_rcp_f32_e32 v47, v45
	v_sub_f32_e32 v1, v36, v45
	v_add_f32_e32 v46, v0, v1
	v_add_f32_e32 v1, v18, v19
	v_mul_f32_e32 v51, v1, v47
	v_sub_f32_e32 v0, v18, v1
	v_mul_f32_e32 v18, v45, v51
	v_fma_f32 v36, v51, v45, -v18
	v_fmac_f32_e32 v36, v51, v46
	v_add_f32_e32 v50, v19, v0
	v_add_f32_e32 v0, v18, v36
	v_sub_f32_e32 v19, v1, v0
	v_pk_add_f32 v[42:43], v[0:1], v[18:19] neg_lo:[0,1] neg_hi:[0,1]
	v_mov_b32_e32 v37, v0
	v_pk_add_f32 v[0:1], v[42:43], v[36:37] neg_lo:[0,1] neg_hi:[0,1]
	v_add_f32_e32 v1, v50, v1
	v_add_f32_e32 v0, v0, v1
	;; [unrolled: 1-line block ×3, first 2 shown]
	v_mul_f32_e32 v50, v47, v1
	v_mul_f32_e32 v18, v45, v50
	v_fma_f32 v36, v50, v45, -v18
	v_fmac_f32_e32 v36, v50, v46
	v_sub_f32_e32 v19, v19, v1
	v_add_f32_e32 v45, v0, v19
	v_add_f32_e32 v0, v18, v36
	v_sub_f32_e32 v19, v1, v0
	v_pk_add_f32 v[42:43], v[0:1], v[18:19] neg_lo:[0,1] neg_hi:[0,1]
	v_mov_b32_e32 v37, v0
	v_pk_add_f32 v[0:1], v[42:43], v[36:37] neg_lo:[0,1] neg_hi:[0,1]
	v_add_f32_e32 v1, v45, v1
	v_add_f32_e32 v0, v0, v1
	;; [unrolled: 1-line block ×4, first 2 shown]
	v_sub_f32_e32 v1, v19, v51
	v_mul_f32_e32 v0, v47, v0
	v_sub_f32_e32 v1, v50, v1
	v_add_f32_e32 v0, v1, v0
	v_add_f32_e32 v36, v19, v0
	v_mul_f32_e32 v42, v36, v36
	v_mov_b32_e32 v18, 0x3ecc95a3
	v_fmac_f32_e32 v18, 0x3e9b6dac, v42
	v_mov_b32_e32 v1, 0x3f2aaada
	v_fmac_f32_e32 v1, v42, v18
	v_cvt_f32_i32_e32 v18, v44
	v_sub_f32_e32 v19, v36, v19
	v_sub_f32_e32 v0, v0, v19
	v_ldexp_f32 v43, v0, 1
	v_mul_f32_e32 v19, v36, v42
	v_mov_b32_e32 v0, 0x3f317218
	s_mov_b32 s0, 0x3f317218
	v_pk_mul_f32 v[0:1], v[18:19], v[0:1]
	v_ldexp_f32 v37, v36, 1
	v_fma_f32 v36, v18, s0, -v0
	v_fmac_f32_e32 v36, 0xb102e308, v18
	v_pk_add_f32 v[18:19], v[0:1], v[36:37]
	v_sub_f32_e32 v37, v19, v37
	v_sub_f32_e32 v37, v1, v37
	v_add_f32_e32 v43, v43, v37
	v_mov_b32_e32 v42, v0
	v_pk_add_f32 v[0:1], v[18:19], v[0:1] neg_lo:[0,1] neg_hi:[0,1]
	v_pk_add_f32 v[44:45], v[18:19], v[42:43]
	v_mov_b32_e32 v1, v45
	v_mov_b32_e32 v37, v18
	v_pk_add_f32 v[46:47], v[36:37], v[0:1] neg_lo:[0,1] neg_hi:[0,1]
	v_pk_add_f32 v[0:1], v[36:37], v[0:1]
	v_mov_b32_e32 v36, v1
	v_pk_add_f32 v[50:51], v[36:37], v[18:19] neg_lo:[0,1] neg_hi:[0,1]
	v_mov_b32_e32 v37, v50
	v_pk_add_f32 v[52:53], v[44:45], v[36:37] neg_lo:[0,1] neg_hi:[0,1]
	v_mov_b32_e32 v0, v45
	v_mov_b32_e32 v44, v19
	;; [unrolled: 1-line block ×4, first 2 shown]
	v_pk_add_f32 v[0:1], v[0:1], v[44:45] neg_lo:[0,1] neg_hi:[0,1]
	v_mov_b32_e32 v42, v43
	v_mov_b32_e32 v43, v18
	v_pk_add_f32 v[0:1], v[42:43], v[0:1] neg_lo:[0,1] neg_hi:[0,1]
	v_mov_b32_e32 v52, v46
	v_pk_add_f32 v[18:19], v[52:53], v[0:1]
	v_mov_b32_e32 v42, v19
	v_pk_add_f32 v[42:43], v[18:19], v[42:43]
	v_pk_add_f32 v[36:37], v[36:37], v[42:43]
	v_mov_b32_e32 v19, v36
	v_pk_add_f32 v[44:45], v[18:19], v[46:47] neg_lo:[0,1] neg_hi:[0,1]
	v_mov_b32_e32 v1, v42
	v_sub_f32_e32 v18, v18, v44
	v_pk_add_f32 v[0:1], v[0:1], v[44:45] neg_lo:[0,1] neg_hi:[0,1]
	v_sub_f32_e32 v18, v46, v18
	s_mov_b32 s1, 0x7f800000
	v_add_f32_e32 v0, v0, v18
	s_mov_b32 s0, 0x33800000
	v_add_f32_e32 v0, v0, v1
	v_cmp_eq_f32_e32 vcc, s1, v54
	v_cmp_gt_f32_e64 s[0:1], s0, v54
	v_add_f32_e32 v0, v36, v0
	s_or_b64 vcc, s[0:1], vcc
	v_cndmask_b32_e32 v18, v0, v54, vcc
.LBB6_20:
	s_or_b64 exec, exec, s[2:3]
	v_mov_b32_e32 v1, s21
	v_add_co_u32_e32 v0, vcc, s20, v40
	v_addc_co_u32_e32 v1, vcc, v41, v1, vcc
	global_load_dword v19, v[0:1], off
	s_add_u32 s3, s22, s12
	s_mov_b32 s2, 0x3fb8aa3b
	s_mul_i32 s4, s6, s25
	s_addc_u32 s5, s23, s13
	s_add_u32 s3, s3, s4
	s_addc_u32 s6, s5, 0
	s_ashr_i64 s[4:5], s[16:17], 28
	v_mov_b32_e32 v76, s5
	s_add_u32 s3, s3, s34
	v_add_co_u32_e32 v38, vcc, s4, v38
	v_addc_co_u32_e32 v39, vcc, v39, v76, vcc
	s_addc_u32 s4, s6, s33
	v_add_co_u32_e32 v34, vcc, s3, v34
	s_mov_b32 s0, 0xc2ce8ed0
	v_mov_b32_e32 v66, 0
	s_mov_b32 s1, 0x42b17218
	v_mov_b32_e32 v67, 0x7f800000
	s_waitcnt vmcnt(0)
	v_pk_mul_f32 v[50:51], v[18:19], v[14:15] op_sel_hi:[0,1]
	v_mul_f32_e32 v62, 0x3fb8aa3b, v51
	v_mul_f32_e32 v63, 0x3fb8aa3b, v50
	v_fma_f32 v68, v51, s2, -v62
	v_rndne_f32_e32 v69, v62
	v_fma_f32 v70, v50, s2, -v63
	v_rndne_f32_e32 v71, v63
	v_fmac_f32_e32 v68, 0x32a5705f, v51
	v_sub_f32_e32 v62, v62, v69
	v_fmac_f32_e32 v70, 0x32a5705f, v50
	v_sub_f32_e32 v63, v63, v71
	v_add_f32_e32 v62, v62, v68
	v_cvt_i32_f32_e32 v69, v69
	v_add_f32_e32 v63, v63, v70
	v_exp_f32_e32 v62, v62
	v_pk_mul_f32 v[16:17], v[18:19], v[16:17] op_sel_hi:[0,1]
	v_cvt_i32_f32_e32 v71, v71
	v_exp_f32_e32 v63, v63
	v_mul_f32_e32 v64, 0x3fb8aa3b, v17
	v_mov_b32_e32 v68, s4
	v_fma_f32 v72, v17, s2, -v64
	v_rndne_f32_e32 v73, v64
	v_addc_co_u32_e32 v35, vcc, v68, v35, vcc
	v_mul_f32_e32 v65, 0x3fb8aa3b, v16
	v_fmac_f32_e32 v72, 0x32a5705f, v17
	v_sub_f32_e32 v64, v64, v73
	v_ldexp_f32 v62, v62, v69
	v_cmp_ngt_f32_e32 vcc, s0, v51
	v_pk_mul_f32 v[52:53], v[18:19], v[10:11] op_sel_hi:[0,1]
	v_pk_mul_f32 v[46:47], v[18:19], v[12:13] op_sel_hi:[0,1]
	;; [unrolled: 1-line block ×6, first 2 shown]
	ds_read_b128 v[54:57], v66 offset:64
	ds_read_b128 v[8:11], v66 offset:80
	;; [unrolled: 1-line block ×4, first 2 shown]
	ds_read_b128 v[12:15], v66
	ds_read_b128 v[58:61], v66 offset:16
	v_fma_f32 v74, v16, s2, -v65
	v_rndne_f32_e32 v75, v65
	v_add_f32_e32 v64, v64, v72
	v_ldexp_f32 v63, v63, v71
	v_cndmask_b32_e32 v62, 0, v62, vcc
	v_cmp_ngt_f32_e32 vcc, s0, v50
	v_cvt_i32_f32_e32 v73, v73
	v_fmac_f32_e32 v74, 0x32a5705f, v16
	v_sub_f32_e32 v65, v65, v75
	v_exp_f32_e32 v64, v64
	v_cndmask_b32_e32 v68, 0, v63, vcc
	v_cmp_nlt_f32_e32 vcc, s1, v51
	v_cndmask_b32_e32 v63, v67, v62, vcc
	v_cmp_nlt_f32_e32 vcc, s1, v50
	v_mul_f32_e32 v50, v18, v19
	v_add_f32_e32 v18, v65, v74
	v_exp_f32_e32 v18, v18
	v_cvt_i32_f32_e32 v19, v75
	v_cndmask_b32_e32 v62, v67, v68, vcc
	s_waitcnt lgkmcnt(1)
	v_pk_mul_f32 v[12:13], v[50:51], v[12:13] op_sel_hi:[0,1]
	v_pk_fma_f32 v[12:13], v[48:49], v[62:63], v[12:13]
	v_ldexp_f32 v48, v64, v73
	v_cmp_ngt_f32_e32 vcc, s0, v17
	v_cndmask_b32_e32 v48, 0, v48, vcc
	v_cmp_nlt_f32_e32 vcc, s1, v17
	v_ldexp_f32 v18, v18, v19
	v_cndmask_b32_e32 v49, v67, v48, vcc
	v_cmp_ngt_f32_e32 vcc, s0, v16
	v_cndmask_b32_e32 v17, 0, v18, vcc
	v_cmp_nlt_f32_e32 vcc, s1, v16
	v_cndmask_b32_e32 v48, v67, v17, vcc
	v_pk_mul_f32 v[14:15], v[50:51], v[14:15] op_sel_hi:[0,1]
	v_pk_fma_f32 v[14:15], v[30:31], v[48:49], v[14:15]
	v_mul_f32_e32 v30, 0x3fb8aa3b, v53
	v_fma_f32 v31, v53, s2, -v30
	v_rndne_f32_e32 v48, v30
	v_fmac_f32_e32 v31, 0x32a5705f, v53
	v_sub_f32_e32 v30, v30, v48
	v_add_f32_e32 v30, v30, v31
	v_exp_f32_e32 v30, v30
	v_cvt_i32_f32_e32 v31, v48
	v_fma_f32 v51, v54, v12, 0
	v_cmp_ngt_f32_e32 vcc, s0, v53
	v_fmac_f32_e32 v51, v55, v13
	v_ldexp_f32 v30, v30, v31
	v_mul_f32_e32 v31, 0x3fb8aa3b, v52
	v_fma_f32 v48, v52, s2, -v31
	v_rndne_f32_e32 v49, v31
	v_fmac_f32_e32 v48, 0x32a5705f, v52
	v_sub_f32_e32 v31, v31, v49
	v_add_f32_e32 v31, v31, v48
	v_exp_f32_e32 v48, v31
	v_cvt_i32_f32_e32 v49, v49
	v_cndmask_b32_e32 v30, 0, v30, vcc
	v_cmp_nlt_f32_e32 vcc, s1, v53
	v_fmac_f32_e32 v51, v56, v14
	v_cndmask_b32_e32 v31, v67, v30, vcc
	v_ldexp_f32 v30, v48, v49
	v_cmp_ngt_f32_e32 vcc, s0, v52
	v_fmac_f32_e32 v51, v57, v15
	v_cndmask_b32_e32 v30, 0, v30, vcc
	v_cmp_nlt_f32_e32 vcc, s1, v52
	v_cndmask_b32_e32 v30, v67, v30, vcc
	s_waitcnt lgkmcnt(0)
	v_pk_mul_f32 v[48:49], v[50:51], v[58:59] op_sel_hi:[0,1]
	v_mul_f32_e32 v52, 0x3fb8aa3b, v47
	v_pk_fma_f32 v[26:27], v[26:27], v[30:31], v[48:49]
	v_fma_f32 v53, v47, s2, -v52
	v_rndne_f32_e32 v54, v52
	v_fmac_f32_e32 v51, v8, v26
	v_fmac_f32_e32 v53, 0x32a5705f, v47
	v_sub_f32_e32 v52, v52, v54
	v_fmac_f32_e32 v51, v9, v27
	v_mul_f32_e32 v9, 0x3fb8aa3b, v46
	v_add_f32_e32 v52, v52, v53
	v_fma_f32 v30, v46, s2, -v9
	v_rndne_f32_e32 v31, v9
	v_exp_f32_e32 v52, v52
	v_cvt_i32_f32_e32 v53, v54
	v_fmac_f32_e32 v30, 0x32a5705f, v46
	v_sub_f32_e32 v9, v9, v31
	v_add_f32_e32 v9, v9, v30
	v_exp_f32_e32 v30, v9
	v_cvt_i32_f32_e32 v31, v31
	v_ldexp_f32 v8, v52, v53
	v_cmp_ngt_f32_e32 vcc, s0, v47
	v_cndmask_b32_e32 v8, 0, v8, vcc
	v_cmp_nlt_f32_e32 vcc, s1, v47
	v_cndmask_b32_e32 v9, v67, v8, vcc
	v_ldexp_f32 v8, v30, v31
	v_cmp_ngt_f32_e32 vcc, s0, v46
	v_cndmask_b32_e32 v8, 0, v8, vcc
	v_cmp_nlt_f32_e32 vcc, s1, v46
	v_cndmask_b32_e32 v8, v67, v8, vcc
	v_pk_mul_f32 v[30:31], v[50:51], v[60:61] op_sel_hi:[0,1]
	v_mul_f32_e32 v46, 0x3fb8aa3b, v45
	v_fma_f32 v47, v45, s2, -v46
	v_rndne_f32_e32 v48, v46
	v_pk_fma_f32 v[28:29], v[28:29], v[8:9], v[30:31]
	v_fmac_f32_e32 v47, 0x32a5705f, v45
	v_sub_f32_e32 v46, v46, v48
	v_fmac_f32_e32 v51, v10, v28
	v_mul_f32_e32 v9, 0x3fb8aa3b, v44
	v_add_f32_e32 v46, v46, v47
	v_fmac_f32_e32 v51, v11, v29
	v_fma_f32 v10, v44, s2, -v9
	v_rndne_f32_e32 v11, v9
	v_exp_f32_e32 v46, v46
	v_cvt_i32_f32_e32 v47, v48
	v_fmac_f32_e32 v10, 0x32a5705f, v44
	v_sub_f32_e32 v9, v9, v11
	v_add_f32_e32 v9, v9, v10
	v_exp_f32_e32 v10, v9
	v_cvt_i32_f32_e32 v11, v11
	ds_read_b128 v[62:65], v66 offset:32
	ds_read_b128 v[16:19], v66 offset:48
	v_ldexp_f32 v8, v46, v47
	v_cmp_ngt_f32_e32 vcc, s0, v45
	v_cndmask_b32_e32 v8, 0, v8, vcc
	v_cmp_nlt_f32_e32 vcc, s1, v45
	v_cndmask_b32_e32 v9, v67, v8, vcc
	v_ldexp_f32 v8, v10, v11
	v_cmp_ngt_f32_e32 vcc, s0, v44
	v_cndmask_b32_e32 v8, 0, v8, vcc
	v_cmp_nlt_f32_e32 vcc, s1, v44
	v_cndmask_b32_e32 v8, v67, v8, vcc
	s_waitcnt lgkmcnt(1)
	v_pk_mul_f32 v[10:11], v[50:51], v[62:63] op_sel_hi:[0,1]
	v_mul_f32_e32 v30, 0x3fb8aa3b, v43
	v_pk_fma_f32 v[8:9], v[22:23], v[8:9], v[10:11]
	v_fma_f32 v31, v43, s2, -v30
	v_rndne_f32_e32 v44, v30
	v_fmac_f32_e32 v51, v4, v8
	v_fmac_f32_e32 v31, 0x32a5705f, v43
	v_sub_f32_e32 v30, v30, v44
	v_fmac_f32_e32 v51, v5, v9
	v_mul_f32_e32 v5, 0x3fb8aa3b, v42
	v_add_f32_e32 v30, v30, v31
	v_fma_f32 v10, v42, s2, -v5
	v_rndne_f32_e32 v11, v5
	v_exp_f32_e32 v30, v30
	v_cvt_i32_f32_e32 v31, v44
	v_fmac_f32_e32 v10, 0x32a5705f, v42
	v_sub_f32_e32 v5, v5, v11
	v_add_f32_e32 v5, v5, v10
	v_exp_f32_e32 v10, v5
	v_cvt_i32_f32_e32 v11, v11
	v_ldexp_f32 v4, v30, v31
	v_cmp_ngt_f32_e32 vcc, s0, v43
	v_cndmask_b32_e32 v4, 0, v4, vcc
	v_cmp_nlt_f32_e32 vcc, s1, v43
	v_cndmask_b32_e32 v5, v67, v4, vcc
	v_ldexp_f32 v4, v10, v11
	v_cmp_ngt_f32_e32 vcc, s0, v42
	v_cndmask_b32_e32 v4, 0, v4, vcc
	v_cmp_nlt_f32_e32 vcc, s1, v42
	v_cndmask_b32_e32 v4, v67, v4, vcc
	v_pk_mul_f32 v[10:11], v[50:51], v[64:65] op_sel_hi:[0,1]
	v_mul_f32_e32 v22, 0x3fb8aa3b, v41
	v_fma_f32 v23, v41, s2, -v22
	v_rndne_f32_e32 v30, v22
	v_pk_fma_f32 v[10:11], v[32:33], v[4:5], v[10:11]
	v_fmac_f32_e32 v23, 0x32a5705f, v41
	v_sub_f32_e32 v22, v22, v30
	v_fmac_f32_e32 v51, v6, v10
	v_mul_f32_e32 v5, 0x3fb8aa3b, v40
	v_add_f32_e32 v22, v22, v23
	v_fmac_f32_e32 v51, v7, v11
	v_fma_f32 v6, v40, s2, -v5
	v_rndne_f32_e32 v7, v5
	v_exp_f32_e32 v22, v22
	v_cvt_i32_f32_e32 v23, v30
	v_fmac_f32_e32 v6, 0x32a5705f, v40
	v_sub_f32_e32 v5, v5, v7
	v_add_f32_e32 v5, v5, v6
	v_exp_f32_e32 v6, v5
	v_cvt_i32_f32_e32 v7, v7
	v_ldexp_f32 v4, v22, v23
	v_cmp_ngt_f32_e32 vcc, s0, v41
	v_cndmask_b32_e32 v4, 0, v4, vcc
	v_cmp_nlt_f32_e32 vcc, s1, v41
	v_cndmask_b32_e32 v5, v67, v4, vcc
	v_ldexp_f32 v4, v6, v7
	v_cmp_ngt_f32_e32 vcc, s0, v40
	v_cndmask_b32_e32 v4, 0, v4, vcc
	v_cmp_nlt_f32_e32 vcc, s1, v40
	v_cndmask_b32_e32 v4, v67, v4, vcc
	s_waitcnt lgkmcnt(0)
	v_pk_mul_f32 v[6:7], v[50:51], v[16:17] op_sel_hi:[0,1]
	v_mul_f32_e32 v16, 0x3fb8aa3b, v37
	v_pk_fma_f32 v[4:5], v[24:25], v[4:5], v[6:7]
	v_fma_f32 v17, v37, s2, -v16
	v_rndne_f32_e32 v22, v16
	v_fmac_f32_e32 v51, v0, v4
	v_fmac_f32_e32 v17, 0x32a5705f, v37
	v_sub_f32_e32 v16, v16, v22
	v_fmac_f32_e32 v51, v1, v5
	v_mul_f32_e32 v1, 0x3fb8aa3b, v36
	v_add_f32_e32 v16, v16, v17
	v_fma_f32 v6, v36, s2, -v1
	v_rndne_f32_e32 v7, v1
	v_exp_f32_e32 v16, v16
	v_cvt_i32_f32_e32 v17, v22
	v_fmac_f32_e32 v6, 0x32a5705f, v36
	v_sub_f32_e32 v1, v1, v7
	v_add_f32_e32 v1, v1, v6
	v_exp_f32_e32 v6, v1
	v_cvt_i32_f32_e32 v7, v7
	v_ldexp_f32 v0, v16, v17
	v_cmp_ngt_f32_e32 vcc, s0, v37
	v_cndmask_b32_e32 v0, 0, v0, vcc
	v_cmp_nlt_f32_e32 vcc, s1, v37
	v_cndmask_b32_e32 v1, v67, v0, vcc
	v_ldexp_f32 v0, v6, v7
	v_cmp_ngt_f32_e32 vcc, s0, v36
	v_cndmask_b32_e32 v0, 0, v0, vcc
	v_cmp_nlt_f32_e32 vcc, s1, v36
	v_cndmask_b32_e32 v0, v67, v0, vcc
	v_pk_mul_f32 v[6:7], v[50:51], v[18:19] op_sel_hi:[0,1]
	v_pk_fma_f32 v[6:7], v[20:21], v[0:1], v[6:7]
	v_fmac_f32_e32 v51, v2, v6
	v_fmac_f32_e32 v51, v3, v7
	global_store_dword v[38:39], v51, off
	s_barrier
	global_store_dwordx4 v[34:35], v[12:15], off
	global_store_dwordx4 v[34:35], v[26:29], off offset:16
	global_store_dwordx4 v[34:35], v[8:11], off offset:32
	;; [unrolled: 1-line block ×3, first 2 shown]
	s_endpgm
	.section	.rodata,"a",@progbits
	.p2align	6, 0x0
	.amdhsa_kernel _Z12ssm_scan_f32ILm128ELm16ELm5EEvPKfS1_S1_S1_S1_S1_PKiPfiiiiiiiiiiilll
		.amdhsa_group_segment_fixed_size 128
		.amdhsa_private_segment_fixed_size 0
		.amdhsa_kernarg_size 136
		.amdhsa_user_sgpr_count 6
		.amdhsa_user_sgpr_private_segment_buffer 1
		.amdhsa_user_sgpr_dispatch_ptr 0
		.amdhsa_user_sgpr_queue_ptr 0
		.amdhsa_user_sgpr_kernarg_segment_ptr 1
		.amdhsa_user_sgpr_dispatch_id 0
		.amdhsa_user_sgpr_flat_scratch_init 0
		.amdhsa_user_sgpr_kernarg_preload_length 0
		.amdhsa_user_sgpr_kernarg_preload_offset 0
		.amdhsa_user_sgpr_private_segment_size 0
		.amdhsa_uses_dynamic_stack 0
		.amdhsa_system_sgpr_private_segment_wavefront_offset 0
		.amdhsa_system_sgpr_workgroup_id_x 1
		.amdhsa_system_sgpr_workgroup_id_y 1
		.amdhsa_system_sgpr_workgroup_id_z 0
		.amdhsa_system_sgpr_workgroup_info 0
		.amdhsa_system_vgpr_workitem_id 0
		.amdhsa_next_free_vgpr 95
		.amdhsa_next_free_sgpr 40
		.amdhsa_accum_offset 96
		.amdhsa_reserve_vcc 1
		.amdhsa_reserve_flat_scratch 0
		.amdhsa_float_round_mode_32 0
		.amdhsa_float_round_mode_16_64 0
		.amdhsa_float_denorm_mode_32 3
		.amdhsa_float_denorm_mode_16_64 3
		.amdhsa_dx10_clamp 1
		.amdhsa_ieee_mode 1
		.amdhsa_fp16_overflow 0
		.amdhsa_tg_split 0
		.amdhsa_exception_fp_ieee_invalid_op 0
		.amdhsa_exception_fp_denorm_src 0
		.amdhsa_exception_fp_ieee_div_zero 0
		.amdhsa_exception_fp_ieee_overflow 0
		.amdhsa_exception_fp_ieee_underflow 0
		.amdhsa_exception_fp_ieee_inexact 0
		.amdhsa_exception_int_div_zero 0
	.end_amdhsa_kernel
	.section	.text._Z12ssm_scan_f32ILm128ELm16ELm5EEvPKfS1_S1_S1_S1_S1_PKiPfiiiiiiiiiiilll,"axG",@progbits,_Z12ssm_scan_f32ILm128ELm16ELm5EEvPKfS1_S1_S1_S1_S1_PKiPfiiiiiiiiiiilll,comdat
.Lfunc_end6:
	.size	_Z12ssm_scan_f32ILm128ELm16ELm5EEvPKfS1_S1_S1_S1_S1_PKiPfiiiiiiiiiiilll, .Lfunc_end6-_Z12ssm_scan_f32ILm128ELm16ELm5EEvPKfS1_S1_S1_S1_S1_PKiPfiiiiiiiiiiilll
                                        ; -- End function
	.section	.AMDGPU.csdata,"",@progbits
; Kernel info:
; codeLenInByte = 13796
; NumSgprs: 44
; NumVgprs: 95
; NumAgprs: 0
; TotalNumVgprs: 95
; ScratchSize: 0
; MemoryBound: 0
; FloatMode: 240
; IeeeMode: 1
; LDSByteSize: 128 bytes/workgroup (compile time only)
; SGPRBlocks: 5
; VGPRBlocks: 11
; NumSGPRsForWavesPerEU: 44
; NumVGPRsForWavesPerEU: 95
; AccumOffset: 96
; Occupancy: 5
; WaveLimiterHint : 1
; COMPUTE_PGM_RSRC2:SCRATCH_EN: 0
; COMPUTE_PGM_RSRC2:USER_SGPR: 6
; COMPUTE_PGM_RSRC2:TRAP_HANDLER: 0
; COMPUTE_PGM_RSRC2:TGID_X_EN: 1
; COMPUTE_PGM_RSRC2:TGID_Y_EN: 1
; COMPUTE_PGM_RSRC2:TGID_Z_EN: 0
; COMPUTE_PGM_RSRC2:TIDIG_COMP_CNT: 0
; COMPUTE_PGM_RSRC3_GFX90A:ACCUM_OFFSET: 23
; COMPUTE_PGM_RSRC3_GFX90A:TG_SPLIT: 0
	.section	.text._Z12ssm_scan_f32ILm128ELm16ELm6EEvPKfS1_S1_S1_S1_S1_PKiPfiiiiiiiiiiilll,"axG",@progbits,_Z12ssm_scan_f32ILm128ELm16ELm6EEvPKfS1_S1_S1_S1_S1_PKiPfiiiiiiiiiiilll,comdat
	.protected	_Z12ssm_scan_f32ILm128ELm16ELm6EEvPKfS1_S1_S1_S1_S1_PKiPfiiiiiiiiiiilll ; -- Begin function _Z12ssm_scan_f32ILm128ELm16ELm6EEvPKfS1_S1_S1_S1_S1_PKiPfiiiiiiiiiiilll
	.globl	_Z12ssm_scan_f32ILm128ELm16ELm6EEvPKfS1_S1_S1_S1_S1_PKiPfiiiiiiiiiiilll
	.p2align	8
	.type	_Z12ssm_scan_f32ILm128ELm16ELm6EEvPKfS1_S1_S1_S1_S1_PKiPfiiiiiiiiiiilll,@function
_Z12ssm_scan_f32ILm128ELm16ELm6EEvPKfS1_S1_S1_S1_S1_PKiPfiiiiiiiiiiilll: ; @_Z12ssm_scan_f32ILm128ELm16ELm6EEvPKfS1_S1_S1_S1_S1_PKiPfiiiiiiiiiiilll
; %bb.0:
	s_load_dwordx16 s[8:23], s[4:5], 0x0
	s_load_dwordx8 s[24:31], s[4:5], 0x40
	s_mov_b32 s2, s7
	s_mov_b32 s7, 0
	s_lshl_b64 s[0:1], s[6:7], 2
	s_waitcnt lgkmcnt(0)
	s_add_u32 s0, s20, s0
	s_addc_u32 s1, s21, s1
	s_load_dword s0, s[0:1], 0x0
	v_mov_b32_e32 v3, 0
	s_load_dwordx4 s[36:39], s[4:5], 0x60
	v_lshlrev_b32_e32 v62, 2, v0
	v_add_u32_e32 v63, 64, v62
	s_waitcnt lgkmcnt(0)
	s_mul_i32 s0, s0, s25
	s_ashr_i32 s1, s0, 31
	s_add_u32 s0, s8, s0
	s_addc_u32 s1, s9, s1
	s_lshl_b32 s3, s2, 7
	s_ashr_i32 s8, s24, 31
	s_mul_i32 s8, s3, s8
	s_mul_hi_u32 s9, s3, s24
	s_add_i32 s8, s9, s8
	s_lshr_b32 s9, s2, 25
	s_mul_i32 s20, s9, s24
	s_add_i32 s33, s8, s20
	s_mul_i32 s34, s3, s24
	s_add_u32 s0, s0, s34
	s_addc_u32 s1, s1, s33
	s_ashr_i32 s8, s30, 31
	s_mul_i32 s8, s3, s8
	s_mul_hi_u32 s20, s3, s30
	s_add_i32 s8, s20, s8
	s_mul_i32 s9, s9, s30
	s_add_i32 s8, s8, s9
	s_mul_i32 s3, s3, s30
	s_add_u32 s3, s14, s3
	s_addc_u32 s8, s15, s8
	s_ashr_i32 s14, s30, 2
	v_mul_lo_u32 v2, s14, v0
	s_ashr_i32 s9, s24, 2
	v_lshlrev_b64 v[4:5], 2, v[2:3]
	v_mov_b32_e32 v1, s8
	v_add_co_u32_e32 v36, vcc, s3, v4
	v_mul_lo_u32 v2, s9, v0
	v_addc_co_u32_e32 v37, vcc, v1, v5, vcc
	v_lshlrev_b64 v[34:35], 2, v[2:3]
	v_mov_b32_e32 v1, s1
	v_add_co_u32_e32 v38, vcc, s0, v34
	v_addc_co_u32_e32 v39, vcc, v1, v35, vcc
	global_load_dwordx4 v[2:5], v[36:37], off offset:48
	global_load_dwordx4 v[6:9], v[36:37], off offset:32
	;; [unrolled: 1-line block ×3, first 2 shown]
	global_load_dwordx4 v[14:17], v[36:37], off
	global_load_dwordx4 v[18:21], v[38:39], off offset:48
	global_load_dwordx4 v[22:25], v[38:39], off offset:32
	;; [unrolled: 1-line block ×3, first 2 shown]
	global_load_dwordx4 v[30:33], v[38:39], off
	s_mul_i32 s0, s6, s36
	s_add_u32 s0, s16, s0
	s_mov_b32 s3, s7
	s_mul_i32 s1, s6, s38
	s_addc_u32 s7, s17, 0
	s_add_u32 s8, s18, s1
	v_cmp_gt_u32_e32 vcc, 16, v0
	v_mov_b32_e32 v1, s7
	v_add_co_u32_e64 v0, s[0:1], s0, v62
	s_addc_u32 s9, s19, 0
	v_addc_co_u32_e64 v1, s[0:1], 0, v1, s[0:1]
	v_mov_b32_e32 v37, s9
	v_add_co_u32_e64 v36, s[0:1], s8, v62
	v_addc_co_u32_e64 v37, s[0:1], 0, v37, s[0:1]
	s_and_saveexec_b64 s[0:1], vcc
	s_cbranch_execz .LBB7_2
; %bb.1:
	global_load_dword v38, v[0:1], off
	global_load_dword v39, v[36:37], off
	s_waitcnt vmcnt(1)
	ds_write_b32 v62, v38
	s_waitcnt vmcnt(0)
	ds_write_b32 v63, v39
.LBB7_2:
	s_or_b64 exec, exec, s[0:1]
	s_lshl_b64 s[16:17], s[2:3], 9
	s_mul_i32 s0, s6, s29
	s_add_u32 s0, s12, s0
	s_addc_u32 s1, s13, 0
	s_add_u32 s0, s0, s16
	s_addc_u32 s1, s1, s17
	s_waitcnt lgkmcnt(0)
	s_barrier
	global_load_dword v48, v62, s[0:1]
	v_mov_b32_e32 v38, s1
	v_add_co_u32_e64 v49, s[0:1], s0, v62
	v_addc_co_u32_e64 v54, s[0:1], 0, v38, s[0:1]
	s_mov_b32 s0, 0x41a00000
	s_waitcnt vmcnt(0)
	v_cmp_ge_f32_e64 s[0:1], s0, v48
	s_and_saveexec_b64 s[8:9], s[0:1]
	s_cbranch_execz .LBB7_4
; %bb.3:
	v_mul_f32_e32 v38, 0x3fb8aa3b, v48
	s_mov_b32 s0, 0x3fb8aa3b
	v_rndne_f32_e32 v39, v38
	v_sub_f32_e32 v40, v38, v39
	v_fma_f32 v38, v48, s0, -v38
	v_fmac_f32_e32 v38, 0x32a5705f, v48
	v_add_f32_e32 v38, v40, v38
	v_exp_f32_e32 v38, v38
	v_cvt_i32_f32_e32 v39, v39
	s_mov_b32 s0, 0xc2ce8ed0
	v_cmp_ngt_f32_e64 s[0:1], s0, v48
	s_mov_b32 s2, 0x7f800000
	v_ldexp_f32 v38, v38, v39
	v_cndmask_b32_e64 v38, 0, v38, s[0:1]
	s_mov_b32 s0, 0x42b17218
	v_mov_b32_e32 v39, 0x7f800000
	v_cmp_nlt_f32_e64 s[0:1], s0, v48
	v_cndmask_b32_e64 v48, v39, v38, s[0:1]
	v_add_f32_e32 v40, 1.0, v48
	v_add_f32_e32 v38, -1.0, v40
	v_sub_f32_e32 v39, v38, v40
	v_add_f32_e32 v39, 1.0, v39
	v_sub_f32_e32 v38, v48, v38
	v_add_f32_e32 v41, v38, v39
	v_frexp_mant_f32_e32 v42, v40
	s_mov_b32 s0, 0x3f2aaaab
	v_cvt_f64_f32_e32 v[38:39], v40
	v_frexp_exp_i32_f64_e32 v38, v[38:39]
	v_cmp_gt_f32_e64 s[0:1], s0, v42
	v_subbrev_co_u32_e64 v46, s[0:1], 0, v38, s[0:1]
	v_sub_u32_e32 v38, 0, v46
	v_ldexp_f32 v39, v40, v38
	v_add_f32_e32 v40, -1.0, v39
	v_add_f32_e32 v42, 1.0, v39
	v_ldexp_f32 v38, v41, v38
	v_add_f32_e32 v41, 1.0, v40
	v_add_f32_e32 v43, -1.0, v42
	v_sub_f32_e32 v41, v39, v41
	v_sub_f32_e32 v39, v39, v43
	v_add_f32_e32 v41, v38, v41
	v_add_f32_e32 v38, v38, v39
	;; [unrolled: 1-line block ×3, first 2 shown]
	v_rcp_f32_e32 v51, v47
	v_sub_f32_e32 v39, v42, v47
	v_add_f32_e32 v50, v38, v39
	v_add_f32_e32 v39, v40, v41
	v_mul_f32_e32 v53, v39, v51
	v_sub_f32_e32 v38, v40, v39
	v_mul_f32_e32 v40, v47, v53
	v_fma_f32 v42, v53, v47, -v40
	v_fmac_f32_e32 v42, v53, v50
	v_add_f32_e32 v52, v41, v38
	v_add_f32_e32 v38, v40, v42
	v_sub_f32_e32 v41, v39, v38
	v_pk_add_f32 v[44:45], v[38:39], v[40:41] neg_lo:[0,1] neg_hi:[0,1]
	v_mov_b32_e32 v43, v38
	v_pk_add_f32 v[38:39], v[44:45], v[42:43] neg_lo:[0,1] neg_hi:[0,1]
	v_add_f32_e32 v39, v52, v39
	v_add_f32_e32 v38, v38, v39
	;; [unrolled: 1-line block ×3, first 2 shown]
	v_mul_f32_e32 v52, v51, v39
	v_mul_f32_e32 v40, v47, v52
	v_fma_f32 v42, v52, v47, -v40
	v_fmac_f32_e32 v42, v52, v50
	v_sub_f32_e32 v41, v41, v39
	v_add_f32_e32 v47, v38, v41
	v_add_f32_e32 v38, v40, v42
	v_sub_f32_e32 v41, v39, v38
	v_pk_add_f32 v[44:45], v[38:39], v[40:41] neg_lo:[0,1] neg_hi:[0,1]
	v_mov_b32_e32 v43, v38
	v_pk_add_f32 v[38:39], v[44:45], v[42:43] neg_lo:[0,1] neg_hi:[0,1]
	v_add_f32_e32 v39, v47, v39
	v_add_f32_e32 v38, v38, v39
	;; [unrolled: 1-line block ×4, first 2 shown]
	v_sub_f32_e32 v39, v41, v53
	v_mul_f32_e32 v38, v51, v38
	v_sub_f32_e32 v39, v52, v39
	v_add_f32_e32 v38, v39, v38
	v_add_f32_e32 v42, v41, v38
	v_mul_f32_e32 v44, v42, v42
	v_mov_b32_e32 v40, 0x3ecc95a3
	v_fmac_f32_e32 v40, 0x3e9b6dac, v44
	v_mov_b32_e32 v39, 0x3f2aaada
	v_fmac_f32_e32 v39, v44, v40
	v_cvt_f32_i32_e32 v40, v46
	v_sub_f32_e32 v41, v42, v41
	v_sub_f32_e32 v38, v38, v41
	v_ldexp_f32 v45, v38, 1
	v_mul_f32_e32 v41, v42, v44
	v_mov_b32_e32 v38, 0x3f317218
	s_mov_b32 s0, 0x3f317218
	v_pk_mul_f32 v[38:39], v[40:41], v[38:39]
	v_ldexp_f32 v43, v42, 1
	v_fma_f32 v42, v40, s0, -v38
	v_fmac_f32_e32 v42, 0xb102e308, v40
	v_pk_add_f32 v[40:41], v[38:39], v[42:43]
	v_sub_f32_e32 v43, v41, v43
	v_sub_f32_e32 v43, v39, v43
	v_add_f32_e32 v45, v45, v43
	v_mov_b32_e32 v44, v38
	v_pk_add_f32 v[38:39], v[40:41], v[38:39] neg_lo:[0,1] neg_hi:[0,1]
	v_pk_add_f32 v[46:47], v[40:41], v[44:45]
	v_mov_b32_e32 v39, v47
	v_mov_b32_e32 v43, v40
	v_pk_add_f32 v[50:51], v[42:43], v[38:39] neg_lo:[0,1] neg_hi:[0,1]
	v_pk_add_f32 v[38:39], v[42:43], v[38:39]
	v_mov_b32_e32 v42, v39
	v_pk_add_f32 v[52:53], v[42:43], v[40:41] neg_lo:[0,1] neg_hi:[0,1]
	v_mov_b32_e32 v43, v52
	v_pk_add_f32 v[56:57], v[46:47], v[42:43] neg_lo:[0,1] neg_hi:[0,1]
	v_mov_b32_e32 v38, v47
	v_mov_b32_e32 v46, v41
	;; [unrolled: 1-line block ×4, first 2 shown]
	v_pk_add_f32 v[38:39], v[38:39], v[46:47] neg_lo:[0,1] neg_hi:[0,1]
	v_mov_b32_e32 v44, v45
	v_mov_b32_e32 v45, v40
	v_pk_add_f32 v[38:39], v[44:45], v[38:39] neg_lo:[0,1] neg_hi:[0,1]
	v_mov_b32_e32 v56, v50
	v_pk_add_f32 v[40:41], v[56:57], v[38:39]
	v_mov_b32_e32 v44, v41
	v_pk_add_f32 v[44:45], v[40:41], v[44:45]
	v_pk_add_f32 v[42:43], v[42:43], v[44:45]
	v_mov_b32_e32 v41, v42
	v_pk_add_f32 v[46:47], v[40:41], v[50:51] neg_lo:[0,1] neg_hi:[0,1]
	v_mov_b32_e32 v39, v44
	v_sub_f32_e32 v40, v40, v46
	v_pk_add_f32 v[38:39], v[38:39], v[46:47] neg_lo:[0,1] neg_hi:[0,1]
	v_sub_f32_e32 v40, v50, v40
	v_add_f32_e32 v38, v38, v40
	v_cmp_eq_f32_e64 s[0:1], s2, v48
	s_mov_b32 s2, 0x33800000
	v_add_f32_e32 v38, v38, v39
	v_cmp_gt_f32_e64 s[2:3], s2, v48
	v_add_f32_e32 v38, v42, v38
	s_or_b64 s[0:1], s[2:3], s[0:1]
	v_cndmask_b32_e64 v48, v38, v48, s[0:1]
.LBB7_4:
	s_or_b64 exec, exec, s[8:9]
	s_load_dwordx4 s[12:15], s[4:5], 0x70
	s_mul_i32 s0, s6, s27
	v_pk_mul_f32 v[38:39], v[48:49], v[14:15] op_sel_hi:[0,1]
	s_mov_b32 s19, 0x3fb8aa3b
	v_mul_f32_e32 v55, 0x3fb8aa3b, v39
	s_waitcnt lgkmcnt(0)
	s_mul_i32 s1, s6, s15
	s_mul_hi_u32 s2, s6, s14
	s_mul_i32 s3, s6, s14
	s_add_i32 s1, s2, s1
	s_mul_hi_u32 s2, s3, 24
	s_mul_i32 s1, s1, 24
	s_add_i32 s1, s2, s1
	s_mul_i32 s3, s3, 24
	s_add_u32 s2, s22, s3
	s_addc_u32 s3, s23, s1
	s_ashr_i32 s8, s31, 2
	s_add_u32 s0, s10, s0
	s_addc_u32 s1, s11, 0
	s_add_u32 s4, s0, s16
	s_addc_u32 s5, s1, s17
	global_load_dword v52, v62, s[4:5]
	v_pk_mul_f32 v[50:51], v[48:49], v[16:17] op_sel_hi:[0,1]
	v_mul_f32_e32 v57, 0x3fb8aa3b, v38
	v_fma_f32 v60, v39, s19, -v55
	v_rndne_f32_e32 v61, v55
	v_mul_f32_e32 v58, 0x3fb8aa3b, v51
	v_fma_f32 v64, v38, s19, -v57
	v_rndne_f32_e32 v65, v57
	v_fmac_f32_e32 v60, 0x32a5705f, v39
	v_sub_f32_e32 v55, v55, v61
	v_mul_f32_e32 v59, 0x3fb8aa3b, v50
	v_fma_f32 v66, v51, s19, -v58
	v_rndne_f32_e32 v67, v58
	v_fmac_f32_e32 v64, 0x32a5705f, v38
	v_sub_f32_e32 v57, v57, v65
	v_add_f32_e32 v55, v55, v60
	v_fma_f32 v68, v50, s19, -v59
	v_rndne_f32_e32 v69, v59
	v_cvt_i32_f32_e32 v61, v61
	v_fmac_f32_e32 v66, 0x32a5705f, v51
	v_sub_f32_e32 v58, v58, v67
	v_add_f32_e32 v57, v57, v64
	v_exp_f32_e32 v55, v55
	v_cvt_i32_f32_e32 v65, v65
	v_fmac_f32_e32 v68, 0x32a5705f, v50
	v_sub_f32_e32 v59, v59, v69
	v_add_f32_e32 v58, v58, v66
	v_exp_f32_e32 v57, v57
	v_cvt_i32_f32_e32 v67, v67
	v_add_f32_e32 v59, v59, v68
	v_exp_f32_e32 v58, v58
	s_mov_b32 s7, 0xc2ce8ed0
	v_cvt_i32_f32_e32 v69, v69
	v_exp_f32_e32 v59, v59
	v_ldexp_f32 v55, v55, v61
	v_cmp_ngt_f32_e64 s[0:1], s7, v39
	v_ldexp_f32 v57, v57, v65
	v_cndmask_b32_e64 v55, 0, v55, s[0:1]
	v_cmp_ngt_f32_e64 s[0:1], s7, v38
	v_mov_b32_e32 v53, 0
	v_ldexp_f32 v58, v58, v67
	v_cndmask_b32_e64 v57, 0, v57, s[0:1]
	v_cmp_ngt_f32_e64 s[0:1], s7, v51
	s_mov_b32 s18, 0x42b17218
	ds_read_b128 v[40:43], v53
	ds_read_b128 v[44:47], v53 offset:16
	v_ldexp_f32 v59, v59, v69
	v_cndmask_b32_e64 v60, 0, v58, s[0:1]
	v_cmp_ngt_f32_e64 s[0:1], s7, v50
	v_mov_b32_e32 v56, 0x7f800000
	v_cndmask_b32_e64 v61, 0, v59, s[0:1]
	v_cmp_nlt_f32_e64 s[0:1], s18, v39
	v_cndmask_b32_e64 v59, v56, v55, s[0:1]
	v_cmp_nlt_f32_e64 s[0:1], s18, v38
	;; [unrolled: 2-line block ×4, first 2 shown]
	v_cndmask_b32_e64 v50, v56, v61, s[0:1]
	s_add_u32 s2, s2, s16
	v_mov_b32_e32 v38, s5
	v_add_co_u32_e64 v55, s[0:1], s4, v62
	s_addc_u32 s3, s3, s17
	v_addc_co_u32_e64 v57, s[0:1], 0, v38, s[0:1]
	v_mov_b32_e32 v39, s3
	v_add_co_u32_e64 v38, s[0:1], s2, v62
	v_addc_co_u32_e64 v39, s[0:1], 0, v39, s[0:1]
	s_ashr_i32 s10, s37, 2
	s_ashr_i32 s9, s8, 31
	;; [unrolled: 1-line block ×3, first 2 shown]
	s_waitcnt vmcnt(0)
	v_mul_f32_e32 v52, v48, v52
	s_waitcnt lgkmcnt(1)
	v_pk_mul_f32 v[40:41], v[52:53], v[40:41] op_sel_hi:[0,1]
	v_pk_mul_f32 v[42:43], v[52:53], v[42:43] op_sel_hi:[0,1]
	v_pk_fma_f32 v[40:41], v[30:31], v[58:59], v[40:41]
	v_pk_mul_f32 v[30:31], v[48:49], v[10:11] op_sel_hi:[0,1]
	v_pk_fma_f32 v[32:33], v[32:33], v[50:51], v[42:43]
	v_mul_f32_e32 v42, 0x3fb8aa3b, v31
	v_fma_f32 v43, v31, s19, -v42
	v_rndne_f32_e32 v50, v42
	v_fmac_f32_e32 v43, 0x32a5705f, v31
	v_sub_f32_e32 v42, v42, v50
	v_add_f32_e32 v42, v42, v43
	v_exp_f32_e32 v42, v42
	v_cvt_i32_f32_e32 v43, v50
	ds_read_b128 v[58:61], v53 offset:64
	ds_read_b128 v[64:67], v53 offset:80
	v_cmp_ngt_f32_e64 s[0:1], s7, v31
	v_ldexp_f32 v42, v42, v43
	v_mul_f32_e32 v43, 0x3fb8aa3b, v30
	v_fma_f32 v50, v30, s19, -v43
	v_rndne_f32_e32 v51, v43
	v_fmac_f32_e32 v50, 0x32a5705f, v30
	v_sub_f32_e32 v43, v43, v51
	v_add_f32_e32 v43, v43, v50
	v_exp_f32_e32 v43, v43
	v_cvt_i32_f32_e32 v50, v51
	v_cndmask_b32_e64 v42, 0, v42, s[0:1]
	v_cmp_nlt_f32_e64 s[0:1], s18, v31
	v_cndmask_b32_e64 v31, v56, v42, s[0:1]
	v_ldexp_f32 v42, v43, v50
	v_pk_mul_f32 v[50:51], v[48:49], v[12:13] op_sel_hi:[0,1]
	s_waitcnt lgkmcnt(1)
	v_fma_f32 v68, v58, v40, 0
	v_mul_f32_e32 v43, 0x3fb8aa3b, v51
	v_fmac_f32_e32 v68, v59, v41
	v_fma_f32 v58, v51, s19, -v43
	v_rndne_f32_e32 v59, v43
	v_cmp_ngt_f32_e64 s[0:1], s7, v30
	v_fmac_f32_e32 v58, 0x32a5705f, v51
	v_sub_f32_e32 v43, v43, v59
	v_cndmask_b32_e64 v42, 0, v42, s[0:1]
	v_add_f32_e32 v43, v43, v58
	v_cmp_nlt_f32_e64 s[0:1], s18, v30
	v_exp_f32_e32 v58, v43
	v_cndmask_b32_e64 v30, v56, v42, s[0:1]
	v_pk_mul_f32 v[42:43], v[52:53], v[44:45] op_sel_hi:[0,1]
	v_pk_fma_f32 v[42:43], v[26:27], v[30:31], v[42:43]
	v_mul_f32_e32 v27, 0x3fb8aa3b, v50
	v_fma_f32 v30, v50, s19, -v27
	v_rndne_f32_e32 v31, v27
	v_cvt_i32_f32_e32 v59, v59
	v_fmac_f32_e32 v30, 0x32a5705f, v50
	v_sub_f32_e32 v27, v27, v31
	v_add_f32_e32 v27, v27, v30
	v_exp_f32_e32 v30, v27
	v_cvt_i32_f32_e32 v31, v31
	v_ldexp_f32 v26, v58, v59
	v_cmp_ngt_f32_e64 s[0:1], s7, v51
	v_cndmask_b32_e64 v26, 0, v26, s[0:1]
	v_cmp_nlt_f32_e64 s[0:1], s18, v51
	v_cndmask_b32_e64 v27, v56, v26, s[0:1]
	v_ldexp_f32 v26, v30, v31
	v_cmp_ngt_f32_e64 s[0:1], s7, v50
	v_cndmask_b32_e64 v26, 0, v26, s[0:1]
	v_cmp_nlt_f32_e64 s[0:1], s18, v50
	v_cndmask_b32_e64 v26, v56, v26, s[0:1]
	v_pk_mul_f32 v[30:31], v[52:53], v[46:47] op_sel_hi:[0,1]
	v_pk_fma_f32 v[44:45], v[28:29], v[26:27], v[30:31]
	v_pk_mul_f32 v[30:31], v[48:49], v[6:7] op_sel_hi:[0,1]
	v_mul_f32_e32 v26, 0x3fb8aa3b, v31
	v_fma_f32 v27, v31, s19, -v26
	v_rndne_f32_e32 v46, v26
	v_fmac_f32_e32 v27, 0x32a5705f, v31
	v_sub_f32_e32 v26, v26, v46
	v_add_f32_e32 v47, v26, v27
	v_exp_f32_e32 v47, v47
	v_cvt_i32_f32_e32 v46, v46
	v_cmp_ngt_f32_e64 s[0:1], s7, v31
	v_fmac_f32_e32 v68, v60, v32
	v_fmac_f32_e32 v68, v61, v33
	v_ldexp_f32 v46, v47, v46
	v_mul_f32_e32 v47, 0x3fb8aa3b, v30
	v_fma_f32 v50, v30, s19, -v47
	v_rndne_f32_e32 v51, v47
	v_fmac_f32_e32 v50, 0x32a5705f, v30
	v_sub_f32_e32 v47, v47, v51
	v_add_f32_e32 v47, v47, v50
	v_exp_f32_e32 v47, v47
	v_cvt_i32_f32_e32 v50, v51
	v_cndmask_b32_e64 v46, 0, v46, s[0:1]
	v_cmp_nlt_f32_e64 s[0:1], s18, v31
	ds_read_b128 v[26:29], v53 offset:32
	ds_read_b128 v[58:61], v53 offset:48
	v_cndmask_b32_e64 v31, v56, v46, s[0:1]
	v_ldexp_f32 v46, v47, v50
	v_pk_mul_f32 v[50:51], v[48:49], v[8:9] op_sel_hi:[0,1]
	s_waitcnt lgkmcnt(2)
	v_fmac_f32_e32 v68, v64, v42
	v_mul_f32_e32 v47, 0x3fb8aa3b, v51
	v_fmac_f32_e32 v68, v65, v43
	v_cmp_ngt_f32_e64 s[0:1], s7, v30
	v_fma_f32 v64, v51, s19, -v47
	v_rndne_f32_e32 v65, v47
	v_cndmask_b32_e64 v46, 0, v46, s[0:1]
	v_fmac_f32_e32 v64, 0x32a5705f, v51
	v_sub_f32_e32 v47, v47, v65
	v_cmp_nlt_f32_e64 s[0:1], s18, v30
	v_add_f32_e32 v47, v47, v64
	v_cndmask_b32_e64 v30, v56, v46, s[0:1]
	s_waitcnt lgkmcnt(1)
	v_pk_mul_f32 v[26:27], v[52:53], v[26:27] op_sel_hi:[0,1]
	v_exp_f32_e32 v64, v47
	v_pk_fma_f32 v[46:47], v[22:23], v[30:31], v[26:27]
	v_mul_f32_e32 v23, 0x3fb8aa3b, v50
	v_fma_f32 v26, v50, s19, -v23
	v_rndne_f32_e32 v27, v23
	v_cvt_i32_f32_e32 v65, v65
	v_fmac_f32_e32 v26, 0x32a5705f, v50
	v_sub_f32_e32 v23, v23, v27
	v_add_f32_e32 v23, v23, v26
	v_exp_f32_e32 v26, v23
	v_cvt_i32_f32_e32 v27, v27
	v_ldexp_f32 v22, v64, v65
	v_cmp_ngt_f32_e64 s[0:1], s7, v51
	v_cndmask_b32_e64 v22, 0, v22, s[0:1]
	v_cmp_nlt_f32_e64 s[0:1], s18, v51
	v_cndmask_b32_e64 v23, v56, v22, s[0:1]
	v_ldexp_f32 v22, v26, v27
	v_cmp_ngt_f32_e64 s[0:1], s7, v50
	v_cndmask_b32_e64 v22, 0, v22, s[0:1]
	v_cmp_nlt_f32_e64 s[0:1], s18, v50
	v_cndmask_b32_e64 v22, v56, v22, s[0:1]
	v_pk_mul_f32 v[26:27], v[52:53], v[28:29] op_sel_hi:[0,1]
	v_pk_fma_f32 v[30:31], v[24:25], v[22:23], v[26:27]
	v_pk_mul_f32 v[26:27], v[48:49], v[2:3] op_sel_hi:[0,1]
	v_mul_f32_e32 v28, 0x3fb8aa3b, v27
	v_fma_f32 v29, v27, s19, -v28
	v_rndne_f32_e32 v50, v28
	v_fmac_f32_e32 v29, 0x32a5705f, v27
	v_sub_f32_e32 v28, v28, v50
	v_add_f32_e32 v28, v28, v29
	v_exp_f32_e32 v28, v28
	v_cvt_i32_f32_e32 v29, v50
	v_fmac_f32_e32 v68, v66, v44
	v_fmac_f32_e32 v68, v67, v45
	ds_read_b128 v[64:67], v53 offset:96
	ds_read_b128 v[22:25], v53 offset:112
	v_ldexp_f32 v28, v28, v29
	v_mul_f32_e32 v29, 0x3fb8aa3b, v26
	v_fma_f32 v50, v26, s19, -v29
	v_rndne_f32_e32 v51, v29
	v_fmac_f32_e32 v50, 0x32a5705f, v26
	v_sub_f32_e32 v29, v29, v51
	v_add_f32_e32 v29, v29, v50
	v_exp_f32_e32 v29, v29
	v_cvt_i32_f32_e32 v50, v51
	v_cmp_ngt_f32_e64 s[0:1], s7, v27
	v_cndmask_b32_e64 v28, 0, v28, s[0:1]
	v_cmp_nlt_f32_e64 s[0:1], s18, v27
	v_cndmask_b32_e64 v27, v56, v28, s[0:1]
	v_ldexp_f32 v28, v29, v50
	v_cmp_ngt_f32_e64 s[0:1], s7, v26
	v_cndmask_b32_e64 v28, 0, v28, s[0:1]
	v_cmp_nlt_f32_e64 s[0:1], s18, v26
	v_cndmask_b32_e64 v26, v56, v28, s[0:1]
	s_waitcnt lgkmcnt(2)
	v_pk_mul_f32 v[28:29], v[52:53], v[58:59] op_sel_hi:[0,1]
	v_pk_mul_f32 v[58:59], v[48:49], v[4:5] op_sel_hi:[0,1]
	s_waitcnt lgkmcnt(1)
	v_fmac_f32_e32 v68, v64, v46
	v_mul_f32_e32 v48, 0x3fb8aa3b, v59
	v_fmac_f32_e32 v68, v65, v47
	v_fma_f32 v50, v59, s19, -v48
	v_rndne_f32_e32 v51, v48
	v_fmac_f32_e32 v68, v66, v30
	v_fmac_f32_e32 v50, 0x32a5705f, v59
	v_sub_f32_e32 v48, v48, v51
	v_fmac_f32_e32 v68, v67, v31
	v_add_f32_e32 v48, v48, v50
	v_cvt_i32_f32_e32 v53, v51
	v_pk_fma_f32 v[50:51], v[18:19], v[26:27], v[28:29]
	s_waitcnt lgkmcnt(0)
	v_fmac_f32_e32 v68, v22, v50
	v_mul_f32_e32 v19, 0x3fb8aa3b, v58
	v_fmac_f32_e32 v68, v23, v51
	v_fma_f32 v22, v58, s19, -v19
	v_rndne_f32_e32 v23, v19
	v_exp_f32_e32 v48, v48
	v_fmac_f32_e32 v22, 0x32a5705f, v58
	v_sub_f32_e32 v19, v19, v23
	v_add_f32_e32 v19, v19, v22
	v_exp_f32_e32 v22, v19
	v_cvt_i32_f32_e32 v23, v23
	v_ldexp_f32 v18, v48, v53
	v_cmp_ngt_f32_e64 s[0:1], s7, v59
	v_cndmask_b32_e64 v18, 0, v18, s[0:1]
	v_cmp_nlt_f32_e64 s[0:1], s18, v59
	v_cndmask_b32_e64 v19, v56, v18, s[0:1]
	v_ldexp_f32 v18, v22, v23
	v_cmp_ngt_f32_e64 s[0:1], s7, v58
	v_cndmask_b32_e64 v18, 0, v18, s[0:1]
	v_cmp_nlt_f32_e64 s[0:1], s18, v58
	v_cndmask_b32_e64 v18, v56, v18, s[0:1]
	v_pk_mul_f32 v[22:23], v[52:53], v[60:61] op_sel_hi:[0,1]
	v_pk_fma_f32 v[52:53], v[20:21], v[18:19], v[22:23]
	v_fmac_f32_e32 v68, v24, v52
	v_fmac_f32_e32 v68, v25, v53
	global_store_dword v62, v68, s[2:3]
	s_barrier
	s_and_saveexec_b64 s[2:3], vcc
	s_cbranch_execz .LBB7_6
; %bb.5:
	s_lshl_b64 s[0:1], s[8:9], 2
	v_mov_b32_e32 v19, s1
	v_add_co_u32_e64 v18, s[0:1], s0, v0
	v_addc_co_u32_e64 v19, s[0:1], v1, v19, s[0:1]
	s_lshl_b64 s[0:1], s[10:11], 2
	global_load_dword v20, v[18:19], off
	v_mov_b32_e32 v19, s1
	v_add_co_u32_e64 v18, s[0:1], s0, v36
	v_addc_co_u32_e64 v19, s[0:1], v37, v19, s[0:1]
	global_load_dword v18, v[18:19], off
	s_waitcnt vmcnt(1)
	ds_write_b32 v62, v20
	s_waitcnt vmcnt(0)
	ds_write_b32 v63, v18
.LBB7_6:
	s_or_b64 exec, exec, s[2:3]
	s_ashr_i32 s0, s28, 2
	s_ashr_i32 s1, s0, 31
	s_lshl_b64 s[18:19], s[0:1], 2
	v_mov_b32_e32 v18, s19
	v_add_co_u32_e64 v48, s[0:1], s18, v49
	v_addc_co_u32_e64 v49, s[0:1], v54, v18, s[0:1]
	s_waitcnt lgkmcnt(0)
	s_barrier
	global_load_dword v56, v[48:49], off
	s_mov_b32 s0, 0x41a00000
	s_waitcnt vmcnt(0)
	v_cmp_ge_f32_e64 s[0:1], s0, v56
	s_and_saveexec_b64 s[4:5], s[0:1]
	s_cbranch_execz .LBB7_8
; %bb.7:
	v_mul_f32_e32 v18, 0x3fb8aa3b, v56
	s_mov_b32 s0, 0x3fb8aa3b
	v_rndne_f32_e32 v19, v18
	v_sub_f32_e32 v20, v18, v19
	v_fma_f32 v18, v56, s0, -v18
	v_fmac_f32_e32 v18, 0x32a5705f, v56
	v_add_f32_e32 v18, v20, v18
	v_exp_f32_e32 v18, v18
	v_cvt_i32_f32_e32 v19, v19
	s_mov_b32 s0, 0xc2ce8ed0
	v_cmp_ngt_f32_e64 s[0:1], s0, v56
	s_mov_b32 s2, 0x7f800000
	v_ldexp_f32 v18, v18, v19
	v_cndmask_b32_e64 v18, 0, v18, s[0:1]
	s_mov_b32 s0, 0x42b17218
	v_mov_b32_e32 v19, 0x7f800000
	v_cmp_nlt_f32_e64 s[0:1], s0, v56
	v_cndmask_b32_e64 v54, v19, v18, s[0:1]
	v_add_f32_e32 v20, 1.0, v54
	v_add_f32_e32 v18, -1.0, v20
	v_sub_f32_e32 v19, v18, v20
	v_add_f32_e32 v19, 1.0, v19
	v_sub_f32_e32 v18, v54, v18
	v_add_f32_e32 v21, v18, v19
	v_frexp_mant_f32_e32 v22, v20
	s_mov_b32 s0, 0x3f2aaaab
	v_cvt_f64_f32_e32 v[18:19], v20
	v_frexp_exp_i32_f64_e32 v18, v[18:19]
	v_cmp_gt_f32_e64 s[0:1], s0, v22
	v_subbrev_co_u32_e64 v26, s[0:1], 0, v18, s[0:1]
	v_sub_u32_e32 v18, 0, v26
	v_ldexp_f32 v19, v20, v18
	v_add_f32_e32 v20, -1.0, v19
	v_add_f32_e32 v22, 1.0, v19
	v_ldexp_f32 v18, v21, v18
	v_add_f32_e32 v21, 1.0, v20
	v_add_f32_e32 v23, -1.0, v22
	v_sub_f32_e32 v21, v19, v21
	v_sub_f32_e32 v19, v19, v23
	v_add_f32_e32 v21, v18, v21
	v_add_f32_e32 v18, v18, v19
	;; [unrolled: 1-line block ×3, first 2 shown]
	v_rcp_f32_e32 v29, v27
	v_sub_f32_e32 v19, v22, v27
	v_add_f32_e32 v28, v18, v19
	v_add_f32_e32 v19, v20, v21
	v_mul_f32_e32 v58, v19, v29
	v_sub_f32_e32 v18, v20, v19
	v_mul_f32_e32 v20, v27, v58
	v_fma_f32 v22, v58, v27, -v20
	v_fmac_f32_e32 v22, v58, v28
	v_add_f32_e32 v56, v21, v18
	v_add_f32_e32 v18, v20, v22
	v_sub_f32_e32 v21, v19, v18
	v_pk_add_f32 v[24:25], v[18:19], v[20:21] neg_lo:[0,1] neg_hi:[0,1]
	v_mov_b32_e32 v23, v18
	v_pk_add_f32 v[18:19], v[24:25], v[22:23] neg_lo:[0,1] neg_hi:[0,1]
	v_add_f32_e32 v19, v56, v19
	v_add_f32_e32 v18, v18, v19
	;; [unrolled: 1-line block ×3, first 2 shown]
	v_mul_f32_e32 v56, v29, v19
	v_mul_f32_e32 v20, v27, v56
	v_fma_f32 v22, v56, v27, -v20
	v_fmac_f32_e32 v22, v56, v28
	v_sub_f32_e32 v21, v21, v19
	v_add_f32_e32 v27, v18, v21
	v_add_f32_e32 v18, v20, v22
	v_sub_f32_e32 v21, v19, v18
	v_pk_add_f32 v[24:25], v[18:19], v[20:21] neg_lo:[0,1] neg_hi:[0,1]
	v_mov_b32_e32 v23, v18
	v_pk_add_f32 v[18:19], v[24:25], v[22:23] neg_lo:[0,1] neg_hi:[0,1]
	v_add_f32_e32 v19, v27, v19
	v_add_f32_e32 v18, v18, v19
	;; [unrolled: 1-line block ×4, first 2 shown]
	v_sub_f32_e32 v19, v21, v58
	v_mul_f32_e32 v18, v29, v18
	v_sub_f32_e32 v19, v56, v19
	v_add_f32_e32 v18, v19, v18
	v_add_f32_e32 v22, v21, v18
	v_mul_f32_e32 v24, v22, v22
	v_mov_b32_e32 v20, 0x3ecc95a3
	v_fmac_f32_e32 v20, 0x3e9b6dac, v24
	v_mov_b32_e32 v19, 0x3f2aaada
	v_fmac_f32_e32 v19, v24, v20
	v_cvt_f32_i32_e32 v20, v26
	v_sub_f32_e32 v21, v22, v21
	v_sub_f32_e32 v18, v18, v21
	v_ldexp_f32 v25, v18, 1
	v_mul_f32_e32 v21, v22, v24
	v_mov_b32_e32 v18, 0x3f317218
	s_mov_b32 s0, 0x3f317218
	v_pk_mul_f32 v[18:19], v[20:21], v[18:19]
	v_ldexp_f32 v23, v22, 1
	v_fma_f32 v22, v20, s0, -v18
	v_fmac_f32_e32 v22, 0xb102e308, v20
	v_pk_add_f32 v[20:21], v[18:19], v[22:23]
	v_sub_f32_e32 v23, v21, v23
	v_sub_f32_e32 v23, v19, v23
	v_add_f32_e32 v25, v25, v23
	v_mov_b32_e32 v24, v18
	v_pk_add_f32 v[18:19], v[20:21], v[18:19] neg_lo:[0,1] neg_hi:[0,1]
	v_pk_add_f32 v[26:27], v[20:21], v[24:25]
	v_mov_b32_e32 v19, v27
	v_mov_b32_e32 v23, v20
	v_pk_add_f32 v[28:29], v[22:23], v[18:19] neg_lo:[0,1] neg_hi:[0,1]
	v_pk_add_f32 v[18:19], v[22:23], v[18:19]
	v_mov_b32_e32 v22, v19
	v_pk_add_f32 v[58:59], v[22:23], v[20:21] neg_lo:[0,1] neg_hi:[0,1]
	v_mov_b32_e32 v23, v58
	v_pk_add_f32 v[60:61], v[26:27], v[22:23] neg_lo:[0,1] neg_hi:[0,1]
	v_mov_b32_e32 v18, v27
	v_mov_b32_e32 v26, v21
	v_mov_b32_e32 v27, v58
	v_mov_b32_e32 v29, v19
	v_pk_add_f32 v[18:19], v[18:19], v[26:27] neg_lo:[0,1] neg_hi:[0,1]
	v_mov_b32_e32 v24, v25
	v_mov_b32_e32 v25, v20
	v_pk_add_f32 v[18:19], v[24:25], v[18:19] neg_lo:[0,1] neg_hi:[0,1]
	v_mov_b32_e32 v60, v28
	v_pk_add_f32 v[20:21], v[60:61], v[18:19]
	v_mov_b32_e32 v24, v21
	v_pk_add_f32 v[24:25], v[20:21], v[24:25]
	v_pk_add_f32 v[22:23], v[22:23], v[24:25]
	v_mov_b32_e32 v21, v22
	v_pk_add_f32 v[26:27], v[20:21], v[28:29] neg_lo:[0,1] neg_hi:[0,1]
	v_mov_b32_e32 v19, v24
	v_sub_f32_e32 v20, v20, v26
	v_pk_add_f32 v[18:19], v[18:19], v[26:27] neg_lo:[0,1] neg_hi:[0,1]
	v_sub_f32_e32 v20, v28, v20
	v_add_f32_e32 v18, v18, v20
	v_cmp_eq_f32_e64 s[0:1], s2, v54
	s_mov_b32 s2, 0x33800000
	v_add_f32_e32 v18, v18, v19
	v_cmp_gt_f32_e64 s[2:3], s2, v54
	v_add_f32_e32 v18, v22, v18
	s_or_b64 s[0:1], s[2:3], s[0:1]
	v_cndmask_b32_e64 v56, v18, v54, s[0:1]
.LBB7_8:
	s_or_b64 exec, exec, s[4:5]
	s_ashr_i32 s0, s26, 2
	s_ashr_i32 s1, s0, 31
	s_lshl_b64 s[20:21], s[0:1], 2
	v_mov_b32_e32 v18, s21
	v_add_co_u32_e64 v54, s[0:1], s20, v55
	v_addc_co_u32_e64 v55, s[0:1], v57, v18, s[0:1]
	global_load_dword v57, v[54:55], off
	s_mov_b32 s24, 0x3fb8aa3b
	s_bfe_i64 s[16:17], s[14:15], 0x200000
	v_mov_b32_e32 v80, 0
	s_mov_b32 s15, 0x42b17218
	v_mov_b32_e32 v81, 0x7f800000
	ds_read_b128 v[26:29], v80
	ds_read_b128 v[64:67], v80 offset:16
	ds_read_b128 v[22:25], v80 offset:32
	;; [unrolled: 1-line block ×3, first 2 shown]
	s_mov_b32 s26, 0
	s_waitcnt vmcnt(0)
	v_pk_mul_f32 v[58:59], v[56:57], v[14:15] op_sel_hi:[0,1]
	v_mul_f32_e32 v68, 0x3fb8aa3b, v59
	v_pk_mul_f32 v[60:61], v[56:57], v[16:17] op_sel_hi:[0,1]
	v_mul_f32_e32 v69, 0x3fb8aa3b, v58
	v_fma_f32 v73, v59, s24, -v68
	v_rndne_f32_e32 v74, v68
	v_mul_f32_e32 v70, 0x3fb8aa3b, v61
	v_fma_f32 v75, v58, s24, -v69
	v_rndne_f32_e32 v78, v69
	v_fmac_f32_e32 v73, 0x32a5705f, v59
	v_sub_f32_e32 v68, v68, v74
	v_mul_f32_e32 v71, 0x3fb8aa3b, v60
	v_fma_f32 v79, v61, s24, -v70
	v_rndne_f32_e32 v82, v70
	v_add_f32_e32 v68, v68, v73
	v_fmac_f32_e32 v75, 0x32a5705f, v58
	v_sub_f32_e32 v69, v69, v78
	v_fma_f32 v83, v60, s24, -v71
	v_rndne_f32_e32 v84, v71
	v_add_f32_e32 v69, v69, v75
	v_cvt_i32_f32_e32 v74, v74
	v_fmac_f32_e32 v79, 0x32a5705f, v61
	v_sub_f32_e32 v70, v70, v82
	v_exp_f32_e32 v68, v68
	v_cvt_i32_f32_e32 v75, v78
	v_fmac_f32_e32 v83, 0x32a5705f, v60
	v_sub_f32_e32 v71, v71, v84
	v_add_f32_e32 v70, v70, v79
	v_exp_f32_e32 v69, v69
	v_cvt_i32_f32_e32 v78, v82
	v_add_f32_e32 v71, v71, v83
	v_exp_f32_e32 v70, v70
	v_cvt_i32_f32_e32 v82, v84
	v_exp_f32_e32 v79, v71
	v_ldexp_f32 v68, v68, v74
	v_cmp_ngt_f32_e64 s[0:1], s7, v59
	v_ldexp_f32 v69, v69, v75
	v_cndmask_b32_e64 v84, 0, v68, s[0:1]
	v_cmp_ngt_f32_e64 s[0:1], s7, v58
	v_pk_mul_f32 v[76:77], v[56:57], v[10:11] op_sel_hi:[0,1]
	v_ldexp_f32 v78, v70, v78
	v_cndmask_b32_e64 v86, 0, v69, s[0:1]
	v_cmp_nlt_f32_e64 s[0:1], s15, v59
	v_cmp_ngt_f32_e64 s[4:5], s7, v61
	v_mul_f32_e32 v72, 0x3fb8aa3b, v77
	v_cmp_nlt_f32_e64 s[2:3], s15, v58
	v_ldexp_f32 v58, v79, v82
	v_cndmask_b32_e64 v59, 0, v78, s[4:5]
	v_cmp_ngt_f32_e64 s[4:5], s7, v60
	v_cndmask_b32_e64 v79, v81, v84, s[0:1]
	v_cmp_nlt_f32_e64 s[0:1], s15, v61
	v_fma_f32 v73, v77, s24, -v72
	v_rndne_f32_e32 v85, v72
	v_cndmask_b32_e64 v58, 0, v58, s[4:5]
	v_cndmask_b32_e64 v61, v81, v59, s[0:1]
	v_cmp_nlt_f32_e64 s[0:1], s15, v60
	v_fmac_f32_e32 v73, 0x32a5705f, v77
	v_sub_f32_e32 v72, v72, v85
	v_cndmask_b32_e64 v60, v81, v58, s[0:1]
	v_mul_f32_e32 v58, v56, v57
	v_add_f32_e32 v83, v72, v73
	s_waitcnt lgkmcnt(3)
	v_pk_mul_f32 v[28:29], v[58:59], v[28:29] op_sel_hi:[0,1]
	v_pk_fma_f32 v[28:29], v[32:33], v[60:61], v[28:29]
	v_exp_f32_e32 v32, v83
	v_cvt_i32_f32_e32 v33, v85
	ds_read_b128 v[68:71], v80 offset:64
	ds_read_b128 v[72:75], v80 offset:80
	v_cndmask_b32_e64 v78, v81, v86, s[2:3]
	v_pk_mul_f32 v[26:27], v[58:59], v[26:27] op_sel_hi:[0,1]
	v_ldexp_f32 v32, v32, v33
	v_mul_f32_e32 v33, 0x3fb8aa3b, v76
	v_pk_fma_f32 v[26:27], v[40:41], v[78:79], v[26:27]
	v_fma_f32 v40, v76, s24, -v33
	v_rndne_f32_e32 v41, v33
	v_fmac_f32_e32 v40, 0x32a5705f, v76
	v_sub_f32_e32 v33, v33, v41
	v_add_f32_e32 v33, v33, v40
	s_waitcnt lgkmcnt(1)
	v_fma_f32 v57, v68, v26, 0
	v_exp_f32_e32 v40, v33
	v_cvt_i32_f32_e32 v41, v41
	v_fmac_f32_e32 v57, v69, v27
	v_fmac_f32_e32 v57, v70, v28
	v_cmp_ngt_f32_e64 s[0:1], s7, v77
	v_fmac_f32_e32 v57, v71, v29
	v_cndmask_b32_e64 v32, 0, v32, s[0:1]
	v_cmp_nlt_f32_e64 s[0:1], s15, v77
	v_cndmask_b32_e64 v33, v81, v32, s[0:1]
	v_ldexp_f32 v32, v40, v41
	v_cmp_ngt_f32_e64 s[0:1], s7, v76
	v_pk_mul_f32 v[60:61], v[56:57], v[12:13] op_sel_hi:[0,1]
	v_cndmask_b32_e64 v32, 0, v32, s[0:1]
	v_cmp_nlt_f32_e64 s[0:1], s15, v76
	v_pk_mul_f32 v[40:41], v[58:59], v[64:65] op_sel_hi:[0,1]
	v_mul_f32_e32 v59, 0x3fb8aa3b, v61
	v_cndmask_b32_e64 v32, v81, v32, s[0:1]
	v_fma_f32 v64, v61, s24, -v59
	v_rndne_f32_e32 v65, v59
	v_fmac_f32_e32 v64, 0x32a5705f, v61
	v_sub_f32_e32 v59, v59, v65
	v_pk_fma_f32 v[42:43], v[42:43], v[32:33], v[40:41]
	v_mul_f32_e32 v33, 0x3fb8aa3b, v60
	v_add_f32_e32 v59, v59, v64
	v_fma_f32 v40, v60, s24, -v33
	v_rndne_f32_e32 v41, v33
	v_exp_f32_e32 v59, v59
	v_cvt_i32_f32_e32 v64, v65
	v_fmac_f32_e32 v40, 0x32a5705f, v60
	v_sub_f32_e32 v33, v33, v41
	v_add_f32_e32 v33, v33, v40
	v_exp_f32_e32 v40, v33
	v_cvt_i32_f32_e32 v41, v41
	v_ldexp_f32 v32, v59, v64
	v_cmp_ngt_f32_e64 s[0:1], s7, v61
	s_waitcnt lgkmcnt(0)
	v_fmac_f32_e32 v57, v72, v42
	v_cndmask_b32_e64 v32, 0, v32, s[0:1]
	v_cmp_nlt_f32_e64 s[0:1], s15, v61
	v_fmac_f32_e32 v57, v73, v43
	v_cndmask_b32_e64 v33, v81, v32, s[0:1]
	v_ldexp_f32 v32, v40, v41
	v_cmp_ngt_f32_e64 s[0:1], s7, v60
	v_cndmask_b32_e64 v32, 0, v32, s[0:1]
	v_cmp_nlt_f32_e64 s[0:1], s15, v60
	v_pk_mul_f32 v[60:61], v[56:57], v[6:7] op_sel_hi:[0,1]
	v_pk_mul_f32 v[40:41], v[58:59], v[66:67] op_sel_hi:[0,1]
	v_mul_f32_e32 v59, 0x3fb8aa3b, v61
	v_cndmask_b32_e64 v32, v81, v32, s[0:1]
	v_fma_f32 v64, v61, s24, -v59
	v_rndne_f32_e32 v65, v59
	v_fmac_f32_e32 v64, 0x32a5705f, v61
	v_sub_f32_e32 v59, v59, v65
	v_pk_fma_f32 v[44:45], v[44:45], v[32:33], v[40:41]
	v_mul_f32_e32 v33, 0x3fb8aa3b, v60
	v_add_f32_e32 v59, v59, v64
	v_fma_f32 v40, v60, s24, -v33
	v_rndne_f32_e32 v41, v33
	v_exp_f32_e32 v59, v59
	v_cvt_i32_f32_e32 v64, v65
	v_fmac_f32_e32 v40, 0x32a5705f, v60
	v_sub_f32_e32 v33, v33, v41
	v_add_f32_e32 v33, v33, v40
	v_exp_f32_e32 v40, v33
	v_cvt_i32_f32_e32 v41, v41
	v_ldexp_f32 v32, v59, v64
	v_cmp_ngt_f32_e64 s[0:1], s7, v61
	v_cndmask_b32_e64 v32, 0, v32, s[0:1]
	v_cmp_nlt_f32_e64 s[0:1], s15, v61
	v_cndmask_b32_e64 v33, v81, v32, s[0:1]
	v_ldexp_f32 v32, v40, v41
	v_cmp_ngt_f32_e64 s[0:1], s7, v60
	v_fmac_f32_e32 v57, v74, v44
	v_cndmask_b32_e64 v32, 0, v32, s[0:1]
	v_cmp_nlt_f32_e64 s[0:1], s15, v60
	v_fmac_f32_e32 v57, v75, v45
	v_cndmask_b32_e64 v32, v81, v32, s[0:1]
	v_pk_mul_f32 v[22:23], v[58:59], v[22:23] op_sel_hi:[0,1]
	v_pk_fma_f32 v[46:47], v[46:47], v[32:33], v[22:23]
	v_pk_mul_f32 v[22:23], v[56:57], v[8:9] op_sel_hi:[0,1]
	v_mul_f32_e32 v32, 0x3fb8aa3b, v23
	v_fma_f32 v33, v23, s24, -v32
	v_rndne_f32_e32 v40, v32
	v_fmac_f32_e32 v33, 0x32a5705f, v23
	v_sub_f32_e32 v32, v32, v40
	v_add_f32_e32 v32, v32, v33
	v_exp_f32_e32 v32, v32
	v_cvt_i32_f32_e32 v33, v40
	ds_read_b128 v[64:67], v80 offset:96
	ds_read_b128 v[68:71], v80 offset:112
	v_cmp_ngt_f32_e64 s[0:1], s7, v23
	v_ldexp_f32 v32, v32, v33
	v_mul_f32_e32 v33, 0x3fb8aa3b, v22
	v_fma_f32 v40, v22, s24, -v33
	v_rndne_f32_e32 v41, v33
	v_fmac_f32_e32 v40, 0x32a5705f, v22
	v_sub_f32_e32 v33, v33, v41
	v_add_f32_e32 v33, v33, v40
	v_exp_f32_e32 v33, v33
	v_cvt_i32_f32_e32 v40, v41
	v_cndmask_b32_e64 v32, 0, v32, s[0:1]
	v_cmp_nlt_f32_e64 s[0:1], s15, v23
	s_waitcnt lgkmcnt(1)
	v_fmac_f32_e32 v57, v64, v46
	v_cndmask_b32_e64 v23, v81, v32, s[0:1]
	v_ldexp_f32 v32, v33, v40
	v_cmp_ngt_f32_e64 s[0:1], s7, v22
	v_fmac_f32_e32 v57, v65, v47
	v_cndmask_b32_e64 v32, 0, v32, s[0:1]
	v_cmp_nlt_f32_e64 s[0:1], s15, v22
	v_cndmask_b32_e64 v22, v81, v32, s[0:1]
	v_pk_mul_f32 v[32:33], v[56:57], v[2:3] op_sel_hi:[0,1]
	v_mul_f32_e32 v40, 0x3fb8aa3b, v33
	v_pk_mul_f32 v[24:25], v[58:59], v[24:25] op_sel_hi:[0,1]
	v_fma_f32 v41, v33, s24, -v40
	v_rndne_f32_e32 v59, v40
	v_fmac_f32_e32 v41, 0x32a5705f, v33
	v_sub_f32_e32 v40, v40, v59
	v_pk_fma_f32 v[30:31], v[30:31], v[22:23], v[24:25]
	v_mul_f32_e32 v23, 0x3fb8aa3b, v32
	v_add_f32_e32 v40, v40, v41
	v_fma_f32 v24, v32, s24, -v23
	v_rndne_f32_e32 v25, v23
	v_exp_f32_e32 v40, v40
	v_cvt_i32_f32_e32 v41, v59
	v_fmac_f32_e32 v24, 0x32a5705f, v32
	v_sub_f32_e32 v23, v23, v25
	v_add_f32_e32 v23, v23, v24
	v_exp_f32_e32 v24, v23
	v_cvt_i32_f32_e32 v25, v25
	v_fmac_f32_e32 v57, v66, v30
	v_ldexp_f32 v22, v40, v41
	v_cmp_ngt_f32_e64 s[0:1], s7, v33
	v_fmac_f32_e32 v57, v67, v31
	v_cndmask_b32_e64 v22, 0, v22, s[0:1]
	v_cmp_nlt_f32_e64 s[0:1], s15, v33
	v_cndmask_b32_e64 v23, v81, v22, s[0:1]
	v_ldexp_f32 v22, v24, v25
	v_cmp_ngt_f32_e64 s[0:1], s7, v32
	v_pk_mul_f32 v[24:25], v[56:57], v[4:5] op_sel_hi:[0,1]
	v_cndmask_b32_e64 v22, 0, v22, s[0:1]
	v_cmp_nlt_f32_e64 s[0:1], s15, v32
	v_mul_f32_e32 v32, 0x3fb8aa3b, v25
	v_fma_f32 v33, v25, s24, -v32
	v_rndne_f32_e32 v40, v32
	v_fmac_f32_e32 v33, 0x32a5705f, v25
	v_sub_f32_e32 v32, v32, v40
	v_cndmask_b32_e64 v22, v81, v22, s[0:1]
	v_pk_mul_f32 v[18:19], v[58:59], v[18:19] op_sel_hi:[0,1]
	v_add_f32_e32 v32, v32, v33
	v_exp_f32_e32 v41, v32
	v_pk_fma_f32 v[32:33], v[50:51], v[22:23], v[18:19]
	v_mul_f32_e32 v19, 0x3fb8aa3b, v24
	v_fma_f32 v22, v24, s24, -v19
	v_rndne_f32_e32 v23, v19
	v_cvt_i32_f32_e32 v40, v40
	v_fmac_f32_e32 v22, 0x32a5705f, v24
	v_sub_f32_e32 v19, v19, v23
	v_add_f32_e32 v19, v19, v22
	v_exp_f32_e32 v22, v19
	v_cvt_i32_f32_e32 v23, v23
	v_ldexp_f32 v18, v41, v40
	v_cmp_ngt_f32_e64 s[0:1], s7, v25
	v_cndmask_b32_e64 v18, 0, v18, s[0:1]
	v_cmp_nlt_f32_e64 s[0:1], s15, v25
	v_cndmask_b32_e64 v19, v81, v18, s[0:1]
	v_ldexp_f32 v18, v22, v23
	v_cmp_ngt_f32_e64 s[0:1], s7, v24
	v_cndmask_b32_e64 v18, 0, v18, s[0:1]
	v_cmp_nlt_f32_e64 s[0:1], s15, v24
	s_waitcnt lgkmcnt(0)
	v_fmac_f32_e32 v57, v68, v32
	v_cndmask_b32_e64 v18, v81, v18, s[0:1]
	v_pk_mul_f32 v[20:21], v[58:59], v[20:21] op_sel_hi:[0,1]
	v_fmac_f32_e32 v57, v69, v33
	v_pk_fma_f32 v[40:41], v[52:53], v[18:19], v[20:21]
	s_lshl_b64 s[0:1], s[16:17], 2
	v_fmac_f32_e32 v57, v70, v40
	v_mov_b32_e32 v19, s1
	v_add_co_u32_e64 v18, s[0:1], s0, v38
	v_fmac_f32_e32 v57, v71, v41
	v_addc_co_u32_e64 v19, s[0:1], v39, v19, s[0:1]
	global_store_dword v[18:19], v57, off
	s_barrier
	s_and_saveexec_b64 s[2:3], vcc
	s_cbranch_execz .LBB7_10
; %bb.9:
	s_lshl_b64 s[0:1], s[8:9], 3
	v_mov_b32_e32 v19, s1
	v_add_co_u32_e64 v18, s[0:1], s0, v0
	v_addc_co_u32_e64 v19, s[0:1], v1, v19, s[0:1]
	s_lshl_b64 s[0:1], s[10:11], 3
	global_load_dword v20, v[18:19], off
	v_mov_b32_e32 v19, s1
	v_add_co_u32_e64 v18, s[0:1], s0, v36
	v_addc_co_u32_e64 v19, s[0:1], v37, v19, s[0:1]
	global_load_dword v18, v[18:19], off
	s_waitcnt vmcnt(1)
	ds_write_b32 v62, v20
	s_waitcnt vmcnt(0)
	ds_write_b32 v63, v18
.LBB7_10:
	s_or_b64 exec, exec, s[2:3]
	v_mov_b32_e32 v18, s19
	v_add_co_u32_e64 v48, s[0:1], s18, v48
	v_addc_co_u32_e64 v49, s[0:1], v49, v18, s[0:1]
	s_waitcnt lgkmcnt(0)
	s_barrier
	global_load_dword v58, v[48:49], off
	s_mov_b32 s0, 0x41a00000
	s_mov_b32 s27, s14
	s_waitcnt vmcnt(0)
	v_cmp_ge_f32_e64 s[0:1], s0, v58
	s_and_saveexec_b64 s[4:5], s[0:1]
	s_cbranch_execz .LBB7_12
; %bb.11:
	v_mul_f32_e32 v18, 0x3fb8aa3b, v58
	s_mov_b32 s0, 0x3fb8aa3b
	v_rndne_f32_e32 v19, v18
	v_sub_f32_e32 v20, v18, v19
	v_fma_f32 v18, v58, s0, -v18
	v_fmac_f32_e32 v18, 0x32a5705f, v58
	v_add_f32_e32 v18, v20, v18
	v_exp_f32_e32 v18, v18
	v_cvt_i32_f32_e32 v19, v19
	s_mov_b32 s0, 0xc2ce8ed0
	v_cmp_ngt_f32_e64 s[0:1], s0, v58
	s_mov_b32 s2, 0x7f800000
	v_ldexp_f32 v18, v18, v19
	v_cndmask_b32_e64 v18, 0, v18, s[0:1]
	s_mov_b32 s0, 0x42b17218
	v_mov_b32_e32 v19, 0x7f800000
	v_cmp_nlt_f32_e64 s[0:1], s0, v58
	v_cndmask_b32_e64 v60, v19, v18, s[0:1]
	v_add_f32_e32 v20, 1.0, v60
	v_add_f32_e32 v18, -1.0, v20
	v_sub_f32_e32 v19, v18, v20
	v_add_f32_e32 v19, 1.0, v19
	v_sub_f32_e32 v18, v60, v18
	v_add_f32_e32 v21, v18, v19
	v_frexp_mant_f32_e32 v22, v20
	s_mov_b32 s0, 0x3f2aaaab
	v_cvt_f64_f32_e32 v[18:19], v20
	v_frexp_exp_i32_f64_e32 v18, v[18:19]
	v_cmp_gt_f32_e64 s[0:1], s0, v22
	v_subbrev_co_u32_e64 v50, s[0:1], 0, v18, s[0:1]
	v_sub_u32_e32 v18, 0, v50
	v_ldexp_f32 v19, v20, v18
	v_add_f32_e32 v20, -1.0, v19
	v_add_f32_e32 v22, 1.0, v19
	v_ldexp_f32 v18, v21, v18
	v_add_f32_e32 v21, 1.0, v20
	v_add_f32_e32 v23, -1.0, v22
	v_sub_f32_e32 v21, v19, v21
	v_sub_f32_e32 v19, v19, v23
	v_add_f32_e32 v21, v18, v21
	v_add_f32_e32 v18, v18, v19
	;; [unrolled: 1-line block ×3, first 2 shown]
	v_rcp_f32_e32 v53, v51
	v_sub_f32_e32 v19, v22, v51
	v_add_f32_e32 v52, v18, v19
	v_add_f32_e32 v19, v20, v21
	v_mul_f32_e32 v57, v19, v53
	v_sub_f32_e32 v18, v20, v19
	v_mul_f32_e32 v20, v51, v57
	v_fma_f32 v22, v57, v51, -v20
	v_fmac_f32_e32 v22, v57, v52
	v_add_f32_e32 v56, v21, v18
	v_add_f32_e32 v18, v20, v22
	v_sub_f32_e32 v21, v19, v18
	v_pk_add_f32 v[24:25], v[18:19], v[20:21] neg_lo:[0,1] neg_hi:[0,1]
	v_mov_b32_e32 v23, v18
	v_pk_add_f32 v[18:19], v[24:25], v[22:23] neg_lo:[0,1] neg_hi:[0,1]
	v_add_f32_e32 v19, v56, v19
	v_add_f32_e32 v18, v18, v19
	;; [unrolled: 1-line block ×3, first 2 shown]
	v_mul_f32_e32 v56, v53, v19
	v_mul_f32_e32 v20, v51, v56
	v_fma_f32 v22, v56, v51, -v20
	v_fmac_f32_e32 v22, v56, v52
	v_sub_f32_e32 v21, v21, v19
	v_add_f32_e32 v51, v18, v21
	v_add_f32_e32 v18, v20, v22
	v_sub_f32_e32 v21, v19, v18
	v_pk_add_f32 v[24:25], v[18:19], v[20:21] neg_lo:[0,1] neg_hi:[0,1]
	v_mov_b32_e32 v23, v18
	v_pk_add_f32 v[18:19], v[24:25], v[22:23] neg_lo:[0,1] neg_hi:[0,1]
	v_add_f32_e32 v19, v51, v19
	v_add_f32_e32 v18, v18, v19
	;; [unrolled: 1-line block ×4, first 2 shown]
	v_sub_f32_e32 v19, v21, v57
	v_mul_f32_e32 v18, v53, v18
	v_sub_f32_e32 v19, v56, v19
	v_add_f32_e32 v18, v19, v18
	v_add_f32_e32 v22, v21, v18
	v_mul_f32_e32 v24, v22, v22
	v_mov_b32_e32 v20, 0x3ecc95a3
	v_fmac_f32_e32 v20, 0x3e9b6dac, v24
	v_mov_b32_e32 v19, 0x3f2aaada
	v_fmac_f32_e32 v19, v24, v20
	v_cvt_f32_i32_e32 v20, v50
	v_sub_f32_e32 v21, v22, v21
	v_sub_f32_e32 v18, v18, v21
	v_ldexp_f32 v25, v18, 1
	v_mul_f32_e32 v21, v22, v24
	v_mov_b32_e32 v18, 0x3f317218
	s_mov_b32 s0, 0x3f317218
	v_pk_mul_f32 v[18:19], v[20:21], v[18:19]
	v_ldexp_f32 v23, v22, 1
	v_fma_f32 v22, v20, s0, -v18
	v_fmac_f32_e32 v22, 0xb102e308, v20
	v_pk_add_f32 v[20:21], v[18:19], v[22:23]
	v_sub_f32_e32 v23, v21, v23
	v_sub_f32_e32 v23, v19, v23
	v_add_f32_e32 v25, v25, v23
	v_mov_b32_e32 v24, v18
	v_pk_add_f32 v[18:19], v[20:21], v[18:19] neg_lo:[0,1] neg_hi:[0,1]
	v_pk_add_f32 v[50:51], v[20:21], v[24:25]
	v_mov_b32_e32 v19, v51
	v_mov_b32_e32 v23, v20
	v_pk_add_f32 v[52:53], v[22:23], v[18:19] neg_lo:[0,1] neg_hi:[0,1]
	v_pk_add_f32 v[18:19], v[22:23], v[18:19]
	v_mov_b32_e32 v22, v19
	v_pk_add_f32 v[56:57], v[22:23], v[20:21] neg_lo:[0,1] neg_hi:[0,1]
	v_mov_b32_e32 v23, v56
	v_pk_add_f32 v[58:59], v[50:51], v[22:23] neg_lo:[0,1] neg_hi:[0,1]
	v_mov_b32_e32 v18, v51
	v_mov_b32_e32 v50, v21
	;; [unrolled: 1-line block ×4, first 2 shown]
	v_pk_add_f32 v[18:19], v[18:19], v[50:51] neg_lo:[0,1] neg_hi:[0,1]
	v_mov_b32_e32 v24, v25
	v_mov_b32_e32 v25, v20
	v_pk_add_f32 v[18:19], v[24:25], v[18:19] neg_lo:[0,1] neg_hi:[0,1]
	v_mov_b32_e32 v58, v52
	v_pk_add_f32 v[20:21], v[58:59], v[18:19]
	v_mov_b32_e32 v24, v21
	v_pk_add_f32 v[24:25], v[20:21], v[24:25]
	v_pk_add_f32 v[22:23], v[22:23], v[24:25]
	v_mov_b32_e32 v21, v22
	v_pk_add_f32 v[50:51], v[20:21], v[52:53] neg_lo:[0,1] neg_hi:[0,1]
	v_mov_b32_e32 v19, v24
	v_sub_f32_e32 v20, v20, v50
	v_pk_add_f32 v[18:19], v[18:19], v[50:51] neg_lo:[0,1] neg_hi:[0,1]
	v_sub_f32_e32 v20, v52, v20
	v_add_f32_e32 v18, v18, v20
	v_cmp_eq_f32_e64 s[0:1], s2, v60
	s_mov_b32 s2, 0x33800000
	v_add_f32_e32 v18, v18, v19
	v_cmp_gt_f32_e64 s[2:3], s2, v60
	v_add_f32_e32 v18, v22, v18
	s_or_b64 s[0:1], s[2:3], s[0:1]
	v_cndmask_b32_e64 v58, v18, v60, s[0:1]
.LBB7_12:
	s_or_b64 exec, exec, s[4:5]
	v_mov_b32_e32 v18, s21
	v_add_co_u32_e64 v50, s[0:1], s20, v54
	v_addc_co_u32_e64 v51, s[0:1], v55, v18, s[0:1]
	global_load_dword v59, v[50:51], off
	s_mov_b32 s4, 0x3fb8aa3b
	s_mov_b32 s2, 0xc2ce8ed0
	;; [unrolled: 1-line block ×3, first 2 shown]
	v_mov_b32_e32 v80, 0
	v_mov_b32_e32 v61, 0x7f800000
	ds_read_b128 v[52:55], v80
	ds_read_b128 v[64:67], v80 offset:16
	ds_read_b128 v[22:25], v80 offset:32
	;; [unrolled: 1-line block ×5, first 2 shown]
	s_waitcnt vmcnt(0)
	v_pk_mul_f32 v[56:57], v[58:59], v[14:15] op_sel_hi:[0,1]
	v_mul_f32_e32 v60, 0x3fb8aa3b, v57
	v_pk_mul_f32 v[76:77], v[58:59], v[16:17] op_sel_hi:[0,1]
	v_mul_f32_e32 v81, 0x3fb8aa3b, v56
	v_fma_f32 v85, v57, s4, -v60
	v_rndne_f32_e32 v89, v60
	v_mul_f32_e32 v82, 0x3fb8aa3b, v77
	v_fma_f32 v86, v56, s4, -v81
	v_rndne_f32_e32 v90, v81
	v_fmac_f32_e32 v85, 0x32a5705f, v57
	v_sub_f32_e32 v60, v60, v89
	v_mul_f32_e32 v83, 0x3fb8aa3b, v76
	v_fma_f32 v87, v77, s4, -v82
	v_rndne_f32_e32 v91, v82
	v_fmac_f32_e32 v86, 0x32a5705f, v56
	v_sub_f32_e32 v81, v81, v90
	v_add_f32_e32 v60, v60, v85
	v_fma_f32 v88, v76, s4, -v83
	v_rndne_f32_e32 v92, v83
	v_fmac_f32_e32 v87, 0x32a5705f, v77
	v_sub_f32_e32 v82, v82, v91
	v_cvt_i32_f32_e32 v89, v89
	v_add_f32_e32 v81, v81, v86
	v_exp_f32_e32 v60, v60
	v_fmac_f32_e32 v88, 0x32a5705f, v76
	v_cvt_i32_f32_e32 v90, v90
	v_sub_f32_e32 v83, v83, v92
	v_add_f32_e32 v82, v82, v87
	v_exp_f32_e32 v81, v81
	v_cvt_i32_f32_e32 v91, v91
	v_add_f32_e32 v83, v83, v88
	v_exp_f32_e32 v82, v82
	v_cvt_i32_f32_e32 v92, v92
	v_exp_f32_e32 v83, v83
	v_ldexp_f32 v60, v60, v89
	v_cmp_ngt_f32_e64 s[0:1], s2, v57
	v_ldexp_f32 v81, v81, v90
	v_cndmask_b32_e64 v60, 0, v60, s[0:1]
	v_cmp_ngt_f32_e64 s[0:1], s2, v56
	v_ldexp_f32 v82, v82, v91
	v_cndmask_b32_e64 v81, 0, v81, s[0:1]
	v_cmp_ngt_f32_e64 s[0:1], s2, v77
	v_ldexp_f32 v83, v83, v92
	v_cndmask_b32_e64 v82, 0, v82, s[0:1]
	v_cmp_ngt_f32_e64 s[0:1], s2, v76
	v_cndmask_b32_e64 v83, 0, v83, s[0:1]
	v_cmp_nlt_f32_e64 s[0:1], s3, v57
	v_pk_mul_f32 v[78:79], v[58:59], v[10:11] op_sel_hi:[0,1]
	v_cndmask_b32_e64 v57, v61, v60, s[0:1]
	v_cmp_nlt_f32_e64 s[0:1], s3, v56
	v_mul_f32_e32 v84, 0x3fb8aa3b, v79
	v_cndmask_b32_e64 v56, v61, v81, s[0:1]
	v_cmp_nlt_f32_e64 s[0:1], s3, v77
	v_mul_f32_e32 v60, v58, v59
	v_fma_f32 v93, v79, s4, -v84
	v_rndne_f32_e32 v94, v84
	v_cndmask_b32_e64 v77, v61, v82, s[0:1]
	v_cmp_nlt_f32_e64 s[0:1], s3, v76
	s_waitcnt lgkmcnt(5)
	v_pk_mul_f32 v[52:53], v[60:61], v[52:53] op_sel_hi:[0,1]
	v_fmac_f32_e32 v93, 0x32a5705f, v79
	v_sub_f32_e32 v84, v84, v94
	v_cndmask_b32_e64 v76, v61, v83, s[0:1]
	v_pk_mul_f32 v[54:55], v[60:61], v[54:55] op_sel_hi:[0,1]
	v_pk_fma_f32 v[52:53], v[26:27], v[56:57], v[52:53]
	v_mul_f32_e32 v27, 0x3fb8aa3b, v78
	v_add_f32_e32 v84, v84, v93
	v_pk_fma_f32 v[54:55], v[28:29], v[76:77], v[54:55]
	v_fma_f32 v28, v78, s4, -v27
	v_rndne_f32_e32 v29, v27
	v_cvt_i32_f32_e32 v94, v94
	v_exp_f32_e32 v84, v84
	v_fmac_f32_e32 v28, 0x32a5705f, v78
	v_sub_f32_e32 v27, v27, v29
	v_add_f32_e32 v27, v27, v28
	v_exp_f32_e32 v28, v27
	v_cvt_i32_f32_e32 v29, v29
	v_ldexp_f32 v26, v84, v94
	v_cmp_ngt_f32_e64 s[0:1], s2, v79
	v_cndmask_b32_e64 v26, 0, v26, s[0:1]
	v_cmp_nlt_f32_e64 s[0:1], s3, v79
	v_cndmask_b32_e64 v27, v61, v26, s[0:1]
	v_ldexp_f32 v26, v28, v29
	v_cmp_ngt_f32_e64 s[0:1], s2, v78
	v_pk_mul_f32 v[56:57], v[58:59], v[12:13] op_sel_hi:[0,1]
	v_cndmask_b32_e64 v26, 0, v26, s[0:1]
	v_cmp_nlt_f32_e64 s[0:1], s3, v78
	v_mul_f32_e32 v59, 0x3fb8aa3b, v57
	v_cndmask_b32_e64 v26, v61, v26, s[0:1]
	s_waitcnt lgkmcnt(4)
	v_pk_mul_f32 v[28:29], v[60:61], v[64:65] op_sel_hi:[0,1]
	v_fma_f32 v64, v57, s4, -v59
	v_rndne_f32_e32 v65, v59
	v_fmac_f32_e32 v64, 0x32a5705f, v57
	v_sub_f32_e32 v59, v59, v65
	v_pk_fma_f32 v[42:43], v[42:43], v[26:27], v[28:29]
	v_mul_f32_e32 v27, 0x3fb8aa3b, v56
	v_add_f32_e32 v59, v59, v64
	v_fma_f32 v28, v56, s4, -v27
	v_rndne_f32_e32 v29, v27
	v_exp_f32_e32 v59, v59
	v_cvt_i32_f32_e32 v64, v65
	v_fmac_f32_e32 v28, 0x32a5705f, v56
	v_sub_f32_e32 v27, v27, v29
	v_add_f32_e32 v27, v27, v28
	v_exp_f32_e32 v28, v27
	v_cvt_i32_f32_e32 v29, v29
	v_ldexp_f32 v26, v59, v64
	v_cmp_ngt_f32_e64 s[0:1], s2, v57
	v_cndmask_b32_e64 v26, 0, v26, s[0:1]
	v_cmp_nlt_f32_e64 s[0:1], s3, v57
	v_cndmask_b32_e64 v27, v61, v26, s[0:1]
	v_ldexp_f32 v26, v28, v29
	v_cmp_ngt_f32_e64 s[0:1], s2, v56
	v_cndmask_b32_e64 v26, 0, v26, s[0:1]
	v_cmp_nlt_f32_e64 s[0:1], s3, v56
	v_pk_mul_f32 v[56:57], v[58:59], v[6:7] op_sel_hi:[0,1]
	v_mul_f32_e32 v59, 0x3fb8aa3b, v57
	v_cndmask_b32_e64 v26, v61, v26, s[0:1]
	v_pk_mul_f32 v[28:29], v[60:61], v[66:67] op_sel_hi:[0,1]
	v_fma_f32 v64, v57, s4, -v59
	v_rndne_f32_e32 v65, v59
	v_fmac_f32_e32 v64, 0x32a5705f, v57
	v_sub_f32_e32 v59, v59, v65
	v_pk_fma_f32 v[44:45], v[44:45], v[26:27], v[28:29]
	v_mul_f32_e32 v27, 0x3fb8aa3b, v56
	v_add_f32_e32 v59, v59, v64
	v_fma_f32 v28, v56, s4, -v27
	v_rndne_f32_e32 v29, v27
	v_exp_f32_e32 v59, v59
	v_cvt_i32_f32_e32 v64, v65
	v_fmac_f32_e32 v28, 0x32a5705f, v56
	v_sub_f32_e32 v27, v27, v29
	v_add_f32_e32 v27, v27, v28
	v_exp_f32_e32 v28, v27
	v_cvt_i32_f32_e32 v29, v29
	v_ldexp_f32 v26, v59, v64
	v_cmp_ngt_f32_e64 s[0:1], s2, v57
	v_cndmask_b32_e64 v26, 0, v26, s[0:1]
	v_cmp_nlt_f32_e64 s[0:1], s3, v57
	v_cndmask_b32_e64 v27, v61, v26, s[0:1]
	v_ldexp_f32 v26, v28, v29
	v_cmp_ngt_f32_e64 s[0:1], s2, v56
	v_cndmask_b32_e64 v26, 0, v26, s[0:1]
	v_cmp_nlt_f32_e64 s[0:1], s3, v56
	v_cndmask_b32_e64 v26, v61, v26, s[0:1]
	s_waitcnt lgkmcnt(3)
	v_pk_mul_f32 v[22:23], v[60:61], v[22:23] op_sel_hi:[0,1]
	s_waitcnt lgkmcnt(1)
	v_fma_f32 v68, v68, v52, 0
	v_pk_fma_f32 v[46:47], v[46:47], v[26:27], v[22:23]
	v_pk_mul_f32 v[22:23], v[58:59], v[8:9] op_sel_hi:[0,1]
	v_fmac_f32_e32 v68, v69, v53
	v_mul_f32_e32 v26, 0x3fb8aa3b, v23
	v_fmac_f32_e32 v68, v70, v54
	v_rndne_f32_e32 v57, v26
	v_fmac_f32_e32 v68, v71, v55
	v_fma_f32 v56, v23, s4, -v26
	v_sub_f32_e32 v59, v26, v57
	ds_read_b128 v[26:29], v80 offset:96
	ds_read_b128 v[64:67], v80 offset:112
	s_waitcnt lgkmcnt(2)
	v_fmac_f32_e32 v68, v72, v42
	v_fmac_f32_e32 v56, 0x32a5705f, v23
	;; [unrolled: 1-line block ×3, first 2 shown]
	v_add_f32_e32 v56, v59, v56
	v_fmac_f32_e32 v68, v74, v44
	v_exp_f32_e32 v56, v56
	v_cvt_i32_f32_e32 v57, v57
	v_fmac_f32_e32 v68, v75, v45
	s_waitcnt lgkmcnt(1)
	v_fmac_f32_e32 v68, v26, v46
	v_fmac_f32_e32 v68, v27, v47
	v_mul_f32_e32 v27, 0x3fb8aa3b, v22
	v_ldexp_f32 v26, v56, v57
	v_fma_f32 v56, v22, s4, -v27
	v_rndne_f32_e32 v57, v27
	v_fmac_f32_e32 v56, 0x32a5705f, v22
	v_sub_f32_e32 v27, v27, v57
	v_add_f32_e32 v27, v27, v56
	v_exp_f32_e32 v27, v27
	v_cvt_i32_f32_e32 v56, v57
	v_cmp_ngt_f32_e64 s[0:1], s2, v23
	v_cndmask_b32_e64 v26, 0, v26, s[0:1]
	v_cmp_nlt_f32_e64 s[0:1], s3, v23
	v_cndmask_b32_e64 v23, v61, v26, s[0:1]
	v_ldexp_f32 v26, v27, v56
	v_cmp_ngt_f32_e64 s[0:1], s2, v22
	v_cndmask_b32_e64 v26, 0, v26, s[0:1]
	v_cmp_nlt_f32_e64 s[0:1], s3, v22
	v_cndmask_b32_e64 v22, v61, v26, s[0:1]
	v_pk_mul_f32 v[26:27], v[58:59], v[2:3] op_sel_hi:[0,1]
	v_mul_f32_e32 v56, 0x3fb8aa3b, v27
	v_fma_f32 v57, v27, s4, -v56
	v_rndne_f32_e32 v59, v56
	v_fmac_f32_e32 v57, 0x32a5705f, v27
	v_sub_f32_e32 v56, v56, v59
	v_pk_mul_f32 v[24:25], v[60:61], v[24:25] op_sel_hi:[0,1]
	v_add_f32_e32 v56, v56, v57
	v_exp_f32_e32 v69, v56
	v_pk_fma_f32 v[56:57], v[30:31], v[22:23], v[24:25]
	v_mul_f32_e32 v23, 0x3fb8aa3b, v26
	v_fma_f32 v24, v26, s4, -v23
	v_rndne_f32_e32 v25, v23
	v_cvt_i32_f32_e32 v59, v59
	v_fmac_f32_e32 v24, 0x32a5705f, v26
	v_sub_f32_e32 v23, v23, v25
	v_add_f32_e32 v23, v23, v24
	v_exp_f32_e32 v24, v23
	v_cvt_i32_f32_e32 v25, v25
	v_ldexp_f32 v22, v69, v59
	v_cmp_ngt_f32_e64 s[0:1], s2, v27
	v_cndmask_b32_e64 v22, 0, v22, s[0:1]
	v_cmp_nlt_f32_e64 s[0:1], s3, v27
	v_cndmask_b32_e64 v23, v61, v22, s[0:1]
	v_ldexp_f32 v22, v24, v25
	v_cmp_ngt_f32_e64 s[0:1], s2, v26
	v_pk_mul_f32 v[24:25], v[58:59], v[4:5] op_sel_hi:[0,1]
	v_cndmask_b32_e64 v22, 0, v22, s[0:1]
	v_cmp_nlt_f32_e64 s[0:1], s3, v26
	v_mul_f32_e32 v26, 0x3fb8aa3b, v25
	v_fmac_f32_e32 v68, v28, v56
	v_cndmask_b32_e64 v22, v61, v22, s[0:1]
	v_pk_mul_f32 v[18:19], v[60:61], v[18:19] op_sel_hi:[0,1]
	v_fma_f32 v27, v25, s4, -v26
	v_rndne_f32_e32 v28, v26
	v_fmac_f32_e32 v27, 0x32a5705f, v25
	v_sub_f32_e32 v26, v26, v28
	v_pk_fma_f32 v[58:59], v[32:33], v[22:23], v[18:19]
	v_mul_f32_e32 v19, 0x3fb8aa3b, v24
	v_add_f32_e32 v26, v26, v27
	v_fma_f32 v22, v24, s4, -v19
	v_rndne_f32_e32 v23, v19
	v_exp_f32_e32 v26, v26
	v_cvt_i32_f32_e32 v27, v28
	v_fmac_f32_e32 v22, 0x32a5705f, v24
	v_sub_f32_e32 v19, v19, v23
	v_add_f32_e32 v19, v19, v22
	v_exp_f32_e32 v22, v19
	v_cvt_i32_f32_e32 v23, v23
	v_ldexp_f32 v18, v26, v27
	v_cmp_ngt_f32_e64 s[0:1], s2, v25
	v_cndmask_b32_e64 v18, 0, v18, s[0:1]
	v_cmp_nlt_f32_e64 s[0:1], s3, v25
	v_cndmask_b32_e64 v19, v61, v18, s[0:1]
	v_ldexp_f32 v18, v22, v23
	v_cmp_ngt_f32_e64 s[0:1], s2, v24
	v_fmac_f32_e32 v68, v29, v57
	v_cndmask_b32_e64 v18, 0, v18, s[0:1]
	v_cmp_nlt_f32_e64 s[0:1], s3, v24
	s_waitcnt lgkmcnt(0)
	v_fmac_f32_e32 v68, v64, v58
	v_cndmask_b32_e64 v18, v61, v18, s[0:1]
	v_pk_mul_f32 v[20:21], v[60:61], v[20:21] op_sel_hi:[0,1]
	v_fmac_f32_e32 v68, v65, v59
	v_pk_fma_f32 v[60:61], v[40:41], v[18:19], v[20:21]
	s_ashr_i64 s[0:1], s[26:27], 29
	v_fmac_f32_e32 v68, v66, v60
	v_mov_b32_e32 v19, s1
	v_add_co_u32_e64 v18, s[0:1], s0, v38
	v_fmac_f32_e32 v68, v67, v61
	v_addc_co_u32_e64 v19, s[0:1], v39, v19, s[0:1]
	global_store_dword v[18:19], v68, off
	s_barrier
	s_and_saveexec_b64 s[0:1], vcc
	s_cbranch_execz .LBB7_14
; %bb.13:
	v_mad_i64_i32 v[18:19], s[2:3], s8, 12, v[0:1]
	global_load_dword v20, v[18:19], off
	v_mad_i64_i32 v[18:19], s[2:3], s10, 12, v[36:37]
	global_load_dword v18, v[18:19], off
	s_waitcnt vmcnt(1)
	ds_write_b32 v62, v20
	s_waitcnt vmcnt(0)
	ds_write_b32 v63, v18
.LBB7_14:
	s_or_b64 exec, exec, s[0:1]
	v_mov_b32_e32 v18, s19
	v_add_co_u32_e64 v26, s[0:1], s18, v48
	v_addc_co_u32_e64 v27, s[0:1], v49, v18, s[0:1]
	s_waitcnt lgkmcnt(0)
	s_barrier
	global_load_dword v48, v[26:27], off
	s_mov_b32 s0, 0x41a00000
	s_waitcnt vmcnt(0)
	v_cmp_ge_f32_e64 s[0:1], s0, v48
	s_and_saveexec_b64 s[4:5], s[0:1]
	s_cbranch_execz .LBB7_16
; %bb.15:
	v_mul_f32_e32 v18, 0x3fb8aa3b, v48
	s_mov_b32 s0, 0x3fb8aa3b
	v_rndne_f32_e32 v19, v18
	v_sub_f32_e32 v20, v18, v19
	v_fma_f32 v18, v48, s0, -v18
	v_fmac_f32_e32 v18, 0x32a5705f, v48
	v_add_f32_e32 v18, v20, v18
	v_exp_f32_e32 v18, v18
	v_cvt_i32_f32_e32 v19, v19
	s_mov_b32 s0, 0xc2ce8ed0
	v_cmp_ngt_f32_e64 s[0:1], s0, v48
	s_mov_b32 s2, 0x7f800000
	v_ldexp_f32 v18, v18, v19
	v_cndmask_b32_e64 v18, 0, v18, s[0:1]
	s_mov_b32 s0, 0x42b17218
	v_mov_b32_e32 v19, 0x7f800000
	v_cmp_nlt_f32_e64 s[0:1], s0, v48
	v_cndmask_b32_e64 v48, v19, v18, s[0:1]
	v_add_f32_e32 v20, 1.0, v48
	v_add_f32_e32 v18, -1.0, v20
	v_sub_f32_e32 v19, v18, v20
	v_add_f32_e32 v19, 1.0, v19
	v_sub_f32_e32 v18, v48, v18
	v_add_f32_e32 v21, v18, v19
	v_frexp_mant_f32_e32 v22, v20
	s_mov_b32 s0, 0x3f2aaaab
	v_cvt_f64_f32_e32 v[18:19], v20
	v_frexp_exp_i32_f64_e32 v18, v[18:19]
	v_cmp_gt_f32_e64 s[0:1], s0, v22
	v_subbrev_co_u32_e64 v28, s[0:1], 0, v18, s[0:1]
	v_sub_u32_e32 v18, 0, v28
	v_ldexp_f32 v19, v20, v18
	v_add_f32_e32 v20, -1.0, v19
	v_add_f32_e32 v22, 1.0, v19
	v_ldexp_f32 v18, v21, v18
	v_add_f32_e32 v21, 1.0, v20
	v_add_f32_e32 v23, -1.0, v22
	v_sub_f32_e32 v21, v19, v21
	v_sub_f32_e32 v19, v19, v23
	v_add_f32_e32 v21, v18, v21
	v_add_f32_e32 v18, v18, v19
	;; [unrolled: 1-line block ×3, first 2 shown]
	v_rcp_f32_e32 v31, v29
	v_sub_f32_e32 v19, v22, v29
	v_add_f32_e32 v30, v18, v19
	v_add_f32_e32 v19, v20, v21
	v_mul_f32_e32 v33, v19, v31
	v_sub_f32_e32 v18, v20, v19
	v_mul_f32_e32 v20, v29, v33
	v_fma_f32 v22, v33, v29, -v20
	v_fmac_f32_e32 v22, v33, v30
	v_add_f32_e32 v32, v21, v18
	v_add_f32_e32 v18, v20, v22
	v_sub_f32_e32 v21, v19, v18
	v_pk_add_f32 v[24:25], v[18:19], v[20:21] neg_lo:[0,1] neg_hi:[0,1]
	v_mov_b32_e32 v23, v18
	v_pk_add_f32 v[18:19], v[24:25], v[22:23] neg_lo:[0,1] neg_hi:[0,1]
	v_add_f32_e32 v19, v32, v19
	v_add_f32_e32 v18, v18, v19
	v_add_f32_e32 v19, v21, v18
	v_mul_f32_e32 v32, v31, v19
	v_mul_f32_e32 v20, v29, v32
	v_fma_f32 v22, v32, v29, -v20
	v_fmac_f32_e32 v22, v32, v30
	v_sub_f32_e32 v21, v21, v19
	v_add_f32_e32 v29, v18, v21
	v_add_f32_e32 v18, v20, v22
	v_sub_f32_e32 v21, v19, v18
	v_pk_add_f32 v[24:25], v[18:19], v[20:21] neg_lo:[0,1] neg_hi:[0,1]
	v_mov_b32_e32 v23, v18
	v_pk_add_f32 v[18:19], v[24:25], v[22:23] neg_lo:[0,1] neg_hi:[0,1]
	v_add_f32_e32 v19, v29, v19
	v_add_f32_e32 v18, v18, v19
	;; [unrolled: 1-line block ×4, first 2 shown]
	v_sub_f32_e32 v19, v21, v33
	v_mul_f32_e32 v18, v31, v18
	v_sub_f32_e32 v19, v32, v19
	v_add_f32_e32 v18, v19, v18
	v_add_f32_e32 v22, v21, v18
	v_mul_f32_e32 v24, v22, v22
	v_mov_b32_e32 v20, 0x3ecc95a3
	v_fmac_f32_e32 v20, 0x3e9b6dac, v24
	v_mov_b32_e32 v19, 0x3f2aaada
	v_fmac_f32_e32 v19, v24, v20
	v_cvt_f32_i32_e32 v20, v28
	v_sub_f32_e32 v21, v22, v21
	v_sub_f32_e32 v18, v18, v21
	v_ldexp_f32 v25, v18, 1
	v_mul_f32_e32 v21, v22, v24
	v_mov_b32_e32 v18, 0x3f317218
	s_mov_b32 s0, 0x3f317218
	v_pk_mul_f32 v[18:19], v[20:21], v[18:19]
	v_ldexp_f32 v23, v22, 1
	v_fma_f32 v22, v20, s0, -v18
	v_fmac_f32_e32 v22, 0xb102e308, v20
	v_pk_add_f32 v[20:21], v[18:19], v[22:23]
	v_sub_f32_e32 v23, v21, v23
	v_sub_f32_e32 v23, v19, v23
	v_add_f32_e32 v25, v25, v23
	v_mov_b32_e32 v24, v18
	v_pk_add_f32 v[18:19], v[20:21], v[18:19] neg_lo:[0,1] neg_hi:[0,1]
	v_pk_add_f32 v[28:29], v[20:21], v[24:25]
	v_mov_b32_e32 v19, v29
	v_mov_b32_e32 v23, v20
	v_pk_add_f32 v[30:31], v[22:23], v[18:19] neg_lo:[0,1] neg_hi:[0,1]
	v_pk_add_f32 v[18:19], v[22:23], v[18:19]
	v_mov_b32_e32 v22, v19
	v_pk_add_f32 v[32:33], v[22:23], v[20:21] neg_lo:[0,1] neg_hi:[0,1]
	v_mov_b32_e32 v23, v32
	v_pk_add_f32 v[40:41], v[28:29], v[22:23] neg_lo:[0,1] neg_hi:[0,1]
	v_mov_b32_e32 v18, v29
	v_mov_b32_e32 v28, v21
	v_mov_b32_e32 v29, v32
	v_mov_b32_e32 v31, v19
	v_pk_add_f32 v[18:19], v[18:19], v[28:29] neg_lo:[0,1] neg_hi:[0,1]
	v_mov_b32_e32 v24, v25
	v_mov_b32_e32 v25, v20
	v_pk_add_f32 v[18:19], v[24:25], v[18:19] neg_lo:[0,1] neg_hi:[0,1]
	v_mov_b32_e32 v40, v30
	v_pk_add_f32 v[20:21], v[40:41], v[18:19]
	v_mov_b32_e32 v24, v21
	v_pk_add_f32 v[24:25], v[20:21], v[24:25]
	v_pk_add_f32 v[22:23], v[22:23], v[24:25]
	v_mov_b32_e32 v21, v22
	v_pk_add_f32 v[28:29], v[20:21], v[30:31] neg_lo:[0,1] neg_hi:[0,1]
	v_mov_b32_e32 v19, v24
	v_sub_f32_e32 v20, v20, v28
	v_pk_add_f32 v[18:19], v[18:19], v[28:29] neg_lo:[0,1] neg_hi:[0,1]
	v_sub_f32_e32 v20, v30, v20
	v_add_f32_e32 v18, v18, v20
	v_cmp_eq_f32_e64 s[0:1], s2, v48
	s_mov_b32 s2, 0x33800000
	v_add_f32_e32 v18, v18, v19
	v_cmp_gt_f32_e64 s[2:3], s2, v48
	v_add_f32_e32 v18, v22, v18
	s_or_b64 s[0:1], s[2:3], s[0:1]
	v_cndmask_b32_e64 v48, v18, v48, s[0:1]
.LBB7_16:
	s_or_b64 exec, exec, s[4:5]
	v_mov_b32_e32 v18, s21
	v_add_co_u32_e64 v28, s[0:1], s20, v50
	v_addc_co_u32_e64 v29, s[0:1], v51, v18, s[0:1]
	global_load_dword v49, v[28:29], off
	s_mov_b32 s4, 0x3fb8aa3b
	s_mov_b32 s2, 0xc2ce8ed0
	v_mov_b32_e32 v80, 0
	s_mov_b32 s3, 0x42b17218
	v_mov_b32_e32 v51, 0x7f800000
	ds_read_b128 v[30:33], v80
	ds_read_b128 v[64:67], v80 offset:16
	ds_read_b128 v[22:25], v80 offset:32
	;; [unrolled: 1-line block ×5, first 2 shown]
	s_waitcnt vmcnt(0)
	v_pk_mul_f32 v[40:41], v[48:49], v[14:15] op_sel_hi:[0,1]
	v_mul_f32_e32 v50, 0x3fb8aa3b, v41
	v_pk_mul_f32 v[76:77], v[48:49], v[16:17] op_sel_hi:[0,1]
	v_mul_f32_e32 v81, 0x3fb8aa3b, v40
	v_fma_f32 v85, v41, s4, -v50
	v_rndne_f32_e32 v89, v50
	v_mul_f32_e32 v82, 0x3fb8aa3b, v77
	v_fma_f32 v86, v40, s4, -v81
	v_rndne_f32_e32 v90, v81
	v_fmac_f32_e32 v85, 0x32a5705f, v41
	v_sub_f32_e32 v50, v50, v89
	v_mul_f32_e32 v83, 0x3fb8aa3b, v76
	v_fma_f32 v87, v77, s4, -v82
	v_rndne_f32_e32 v91, v82
	v_fmac_f32_e32 v86, 0x32a5705f, v40
	v_sub_f32_e32 v81, v81, v90
	v_add_f32_e32 v50, v50, v85
	v_fma_f32 v88, v76, s4, -v83
	v_rndne_f32_e32 v92, v83
	v_fmac_f32_e32 v87, 0x32a5705f, v77
	v_cvt_i32_f32_e32 v89, v89
	v_sub_f32_e32 v82, v82, v91
	v_add_f32_e32 v81, v81, v86
	v_exp_f32_e32 v50, v50
	v_fmac_f32_e32 v88, 0x32a5705f, v76
	v_cvt_i32_f32_e32 v90, v90
	v_sub_f32_e32 v83, v83, v92
	v_add_f32_e32 v82, v82, v87
	v_exp_f32_e32 v81, v81
	v_cvt_i32_f32_e32 v91, v91
	v_add_f32_e32 v83, v83, v88
	v_exp_f32_e32 v82, v82
	v_cvt_i32_f32_e32 v92, v92
	v_exp_f32_e32 v83, v83
	v_ldexp_f32 v50, v50, v89
	v_cmp_ngt_f32_e64 s[0:1], s2, v41
	v_ldexp_f32 v81, v81, v90
	v_cndmask_b32_e64 v50, 0, v50, s[0:1]
	v_cmp_ngt_f32_e64 s[0:1], s2, v40
	v_ldexp_f32 v82, v82, v91
	v_cndmask_b32_e64 v81, 0, v81, s[0:1]
	;; [unrolled: 3-line block ×3, first 2 shown]
	v_cmp_ngt_f32_e64 s[0:1], s2, v76
	v_cndmask_b32_e64 v83, 0, v83, s[0:1]
	v_cmp_nlt_f32_e64 s[0:1], s3, v41
	v_pk_mul_f32 v[78:79], v[48:49], v[10:11] op_sel_hi:[0,1]
	v_cndmask_b32_e64 v41, v51, v50, s[0:1]
	v_cmp_nlt_f32_e64 s[0:1], s3, v40
	v_mul_f32_e32 v50, v48, v49
	v_mul_f32_e32 v84, 0x3fb8aa3b, v79
	v_cndmask_b32_e64 v40, v51, v81, s[0:1]
	s_waitcnt lgkmcnt(5)
	v_pk_mul_f32 v[30:31], v[50:51], v[30:31] op_sel_hi:[0,1]
	v_fma_f32 v93, v79, s4, -v84
	v_rndne_f32_e32 v94, v84
	v_pk_fma_f32 v[30:31], v[52:53], v[40:41], v[30:31]
	v_mul_f32_e32 v41, 0x3fb8aa3b, v78
	v_fmac_f32_e32 v93, 0x32a5705f, v79
	v_sub_f32_e32 v84, v84, v94
	v_fma_f32 v49, v78, s4, -v41
	v_rndne_f32_e32 v52, v41
	v_add_f32_e32 v84, v84, v93
	v_fmac_f32_e32 v49, 0x32a5705f, v78
	v_sub_f32_e32 v41, v41, v52
	v_cvt_i32_f32_e32 v94, v94
	v_exp_f32_e32 v84, v84
	v_add_f32_e32 v41, v41, v49
	v_exp_f32_e32 v49, v41
	v_cmp_nlt_f32_e64 s[0:1], s3, v77
	v_cvt_i32_f32_e32 v52, v52
	v_cndmask_b32_e64 v77, v51, v82, s[0:1]
	v_cmp_nlt_f32_e64 s[0:1], s3, v76
	v_cndmask_b32_e64 v76, v51, v83, s[0:1]
	v_pk_mul_f32 v[32:33], v[50:51], v[32:33] op_sel_hi:[0,1]
	v_ldexp_f32 v40, v84, v94
	v_cmp_ngt_f32_e64 s[0:1], s2, v79
	v_pk_fma_f32 v[32:33], v[54:55], v[76:77], v[32:33]
	v_cndmask_b32_e64 v40, 0, v40, s[0:1]
	v_cmp_nlt_f32_e64 s[0:1], s3, v79
	v_pk_mul_f32 v[54:55], v[48:49], v[12:13] op_sel_hi:[0,1]
	v_cndmask_b32_e64 v41, v51, v40, s[0:1]
	v_ldexp_f32 v40, v49, v52
	v_mul_f32_e32 v49, 0x3fb8aa3b, v55
	s_waitcnt lgkmcnt(4)
	v_pk_mul_f32 v[52:53], v[50:51], v[64:65] op_sel_hi:[0,1]
	v_fma_f32 v64, v55, s4, -v49
	v_rndne_f32_e32 v65, v49
	v_fmac_f32_e32 v64, 0x32a5705f, v55
	v_sub_f32_e32 v49, v49, v65
	v_add_f32_e32 v49, v49, v64
	v_cmp_ngt_f32_e64 s[0:1], s2, v78
	v_exp_f32_e32 v49, v49
	v_cvt_i32_f32_e32 v64, v65
	v_cndmask_b32_e64 v40, 0, v40, s[0:1]
	v_cmp_nlt_f32_e64 s[0:1], s3, v78
	v_cndmask_b32_e64 v40, v51, v40, s[0:1]
	v_pk_fma_f32 v[40:41], v[42:43], v[40:41], v[52:53]
	v_mul_f32_e32 v43, 0x3fb8aa3b, v54
	v_ldexp_f32 v42, v49, v64
	v_fma_f32 v49, v54, s4, -v43
	v_rndne_f32_e32 v52, v43
	v_fmac_f32_e32 v49, 0x32a5705f, v54
	v_sub_f32_e32 v43, v43, v52
	v_add_f32_e32 v43, v43, v49
	v_exp_f32_e32 v49, v43
	v_cvt_i32_f32_e32 v52, v52
	v_cmp_ngt_f32_e64 s[0:1], s2, v55
	v_cndmask_b32_e64 v42, 0, v42, s[0:1]
	v_cmp_nlt_f32_e64 s[0:1], s3, v55
	v_cndmask_b32_e64 v43, v51, v42, s[0:1]
	v_ldexp_f32 v42, v49, v52
	v_cmp_ngt_f32_e64 s[0:1], s2, v54
	v_cndmask_b32_e64 v42, 0, v42, s[0:1]
	v_cmp_nlt_f32_e64 s[0:1], s3, v54
	v_pk_mul_f32 v[54:55], v[48:49], v[6:7] op_sel_hi:[0,1]
	v_mul_f32_e32 v49, 0x3fb8aa3b, v55
	v_fma_f32 v64, v55, s4, -v49
	v_rndne_f32_e32 v65, v49
	v_fmac_f32_e32 v64, 0x32a5705f, v55
	v_sub_f32_e32 v49, v49, v65
	v_add_f32_e32 v49, v49, v64
	v_exp_f32_e32 v49, v49
	v_cvt_i32_f32_e32 v64, v65
	v_cndmask_b32_e64 v42, v51, v42, s[0:1]
	v_pk_mul_f32 v[52:53], v[50:51], v[66:67] op_sel_hi:[0,1]
	v_pk_fma_f32 v[42:43], v[44:45], v[42:43], v[52:53]
	v_mul_f32_e32 v45, 0x3fb8aa3b, v54
	v_ldexp_f32 v44, v49, v64
	v_fma_f32 v49, v54, s4, -v45
	v_rndne_f32_e32 v52, v45
	v_fmac_f32_e32 v49, 0x32a5705f, v54
	v_sub_f32_e32 v45, v45, v52
	v_add_f32_e32 v45, v45, v49
	v_exp_f32_e32 v49, v45
	v_cvt_i32_f32_e32 v52, v52
	v_cmp_ngt_f32_e64 s[0:1], s2, v55
	v_cndmask_b32_e64 v44, 0, v44, s[0:1]
	v_cmp_nlt_f32_e64 s[0:1], s3, v55
	v_cndmask_b32_e64 v45, v51, v44, s[0:1]
	v_ldexp_f32 v44, v49, v52
	v_cmp_ngt_f32_e64 s[0:1], s2, v54
	v_cndmask_b32_e64 v44, 0, v44, s[0:1]
	v_cmp_nlt_f32_e64 s[0:1], s3, v54
	v_cndmask_b32_e64 v44, v51, v44, s[0:1]
	s_waitcnt lgkmcnt(3)
	v_pk_mul_f32 v[22:23], v[50:51], v[22:23] op_sel_hi:[0,1]
	v_pk_fma_f32 v[44:45], v[46:47], v[44:45], v[22:23]
	v_pk_mul_f32 v[22:23], v[48:49], v[8:9] op_sel_hi:[0,1]
	v_mul_f32_e32 v46, 0x3fb8aa3b, v23
	s_waitcnt lgkmcnt(1)
	v_fma_f32 v68, v68, v30, 0
	v_fma_f32 v47, v23, s4, -v46
	v_rndne_f32_e32 v49, v46
	v_fmac_f32_e32 v68, v69, v31
	v_fmac_f32_e32 v47, 0x32a5705f, v23
	v_sub_f32_e32 v46, v46, v49
	v_fmac_f32_e32 v68, v70, v32
	v_add_f32_e32 v46, v46, v47
	v_fmac_f32_e32 v68, v71, v33
	ds_read_b128 v[52:55], v80 offset:96
	ds_read_b128 v[64:67], v80 offset:112
	v_exp_f32_e32 v46, v46
	v_cvt_i32_f32_e32 v47, v49
	s_waitcnt lgkmcnt(2)
	v_fmac_f32_e32 v68, v72, v40
	v_fmac_f32_e32 v68, v73, v41
	v_fmac_f32_e32 v68, v74, v42
	v_fmac_f32_e32 v68, v75, v43
	v_ldexp_f32 v46, v46, v47
	v_mul_f32_e32 v47, 0x3fb8aa3b, v22
	s_waitcnt lgkmcnt(1)
	v_fmac_f32_e32 v68, v52, v44
	v_fma_f32 v49, v22, s4, -v47
	v_rndne_f32_e32 v52, v47
	v_fmac_f32_e32 v49, 0x32a5705f, v22
	v_sub_f32_e32 v47, v47, v52
	v_add_f32_e32 v47, v47, v49
	v_exp_f32_e32 v47, v47
	v_cvt_i32_f32_e32 v49, v52
	v_cmp_ngt_f32_e64 s[0:1], s2, v23
	v_cndmask_b32_e64 v46, 0, v46, s[0:1]
	v_cmp_nlt_f32_e64 s[0:1], s3, v23
	v_cndmask_b32_e64 v23, v51, v46, s[0:1]
	v_ldexp_f32 v46, v47, v49
	v_cmp_ngt_f32_e64 s[0:1], s2, v22
	v_fmac_f32_e32 v68, v53, v45
	v_cndmask_b32_e64 v46, 0, v46, s[0:1]
	v_cmp_nlt_f32_e64 s[0:1], s3, v22
	v_pk_mul_f32 v[52:53], v[48:49], v[2:3] op_sel_hi:[0,1]
	v_cndmask_b32_e64 v22, v51, v46, s[0:1]
	v_mul_f32_e32 v46, 0x3fb8aa3b, v53
	v_fma_f32 v47, v53, s4, -v46
	v_rndne_f32_e32 v49, v46
	v_fmac_f32_e32 v47, 0x32a5705f, v53
	v_sub_f32_e32 v46, v46, v49
	v_pk_mul_f32 v[24:25], v[50:51], v[24:25] op_sel_hi:[0,1]
	v_add_f32_e32 v46, v46, v47
	v_exp_f32_e32 v69, v46
	v_pk_fma_f32 v[46:47], v[56:57], v[22:23], v[24:25]
	v_mul_f32_e32 v23, 0x3fb8aa3b, v52
	v_fma_f32 v24, v52, s4, -v23
	v_rndne_f32_e32 v25, v23
	v_cvt_i32_f32_e32 v49, v49
	v_fmac_f32_e32 v24, 0x32a5705f, v52
	v_sub_f32_e32 v23, v23, v25
	v_add_f32_e32 v23, v23, v24
	v_exp_f32_e32 v24, v23
	v_cvt_i32_f32_e32 v25, v25
	v_ldexp_f32 v22, v69, v49
	v_cmp_ngt_f32_e64 s[0:1], s2, v53
	v_cndmask_b32_e64 v22, 0, v22, s[0:1]
	v_cmp_nlt_f32_e64 s[0:1], s3, v53
	v_cndmask_b32_e64 v23, v51, v22, s[0:1]
	v_ldexp_f32 v22, v24, v25
	v_pk_mul_f32 v[24:25], v[48:49], v[4:5] op_sel_hi:[0,1]
	v_cmp_ngt_f32_e64 s[0:1], s2, v52
	v_mul_f32_e32 v48, 0x3fb8aa3b, v25
	v_cndmask_b32_e64 v22, 0, v22, s[0:1]
	v_cmp_nlt_f32_e64 s[0:1], s3, v52
	v_fma_f32 v49, v25, s4, -v48
	v_rndne_f32_e32 v52, v48
	v_fmac_f32_e32 v49, 0x32a5705f, v25
	v_sub_f32_e32 v48, v48, v52
	v_cndmask_b32_e64 v22, v51, v22, s[0:1]
	v_pk_mul_f32 v[18:19], v[50:51], v[18:19] op_sel_hi:[0,1]
	v_add_f32_e32 v48, v48, v49
	v_exp_f32_e32 v53, v48
	v_pk_fma_f32 v[48:49], v[58:59], v[22:23], v[18:19]
	v_mul_f32_e32 v19, 0x3fb8aa3b, v24
	v_fma_f32 v22, v24, s4, -v19
	v_rndne_f32_e32 v23, v19
	v_cvt_i32_f32_e32 v52, v52
	v_fmac_f32_e32 v22, 0x32a5705f, v24
	v_sub_f32_e32 v19, v19, v23
	v_add_f32_e32 v19, v19, v22
	v_exp_f32_e32 v22, v19
	v_cvt_i32_f32_e32 v23, v23
	v_ldexp_f32 v18, v53, v52
	v_cmp_ngt_f32_e64 s[0:1], s2, v25
	v_cndmask_b32_e64 v18, 0, v18, s[0:1]
	v_cmp_nlt_f32_e64 s[0:1], s3, v25
	v_fmac_f32_e32 v68, v54, v46
	v_cndmask_b32_e64 v19, v51, v18, s[0:1]
	v_ldexp_f32 v18, v22, v23
	v_cmp_ngt_f32_e64 s[0:1], s2, v24
	v_fmac_f32_e32 v68, v55, v47
	v_cndmask_b32_e64 v18, 0, v18, s[0:1]
	v_cmp_nlt_f32_e64 s[0:1], s3, v24
	s_waitcnt lgkmcnt(0)
	v_fmac_f32_e32 v68, v64, v48
	v_cndmask_b32_e64 v18, v51, v18, s[0:1]
	v_pk_mul_f32 v[20:21], v[50:51], v[20:21] op_sel_hi:[0,1]
	v_fmac_f32_e32 v68, v65, v49
	v_pk_fma_f32 v[50:51], v[60:61], v[18:19], v[20:21]
	v_fmac_f32_e32 v68, v66, v50
	v_fmac_f32_e32 v68, v67, v51
	v_mad_i64_i32 v[18:19], s[0:1], s16, 12, v[38:39]
	global_store_dword v[18:19], v68, off
	s_barrier
	s_and_saveexec_b64 s[2:3], vcc
	s_cbranch_execz .LBB7_18
; %bb.17:
	s_lshl_b64 s[0:1], s[8:9], 4
	v_mov_b32_e32 v19, s1
	v_add_co_u32_e64 v18, s[0:1], s0, v0
	v_addc_co_u32_e64 v19, s[0:1], v1, v19, s[0:1]
	s_lshl_b64 s[0:1], s[10:11], 4
	global_load_dword v20, v[18:19], off
	v_mov_b32_e32 v19, s1
	v_add_co_u32_e64 v18, s[0:1], s0, v36
	v_addc_co_u32_e64 v19, s[0:1], v37, v19, s[0:1]
	global_load_dword v18, v[18:19], off
	s_waitcnt vmcnt(1)
	ds_write_b32 v62, v20
	s_waitcnt vmcnt(0)
	ds_write_b32 v63, v18
.LBB7_18:
	s_or_b64 exec, exec, s[2:3]
	v_mov_b32_e32 v18, s19
	v_add_co_u32_e64 v54, s[0:1], s18, v26
	v_addc_co_u32_e64 v55, s[0:1], v27, v18, s[0:1]
	s_waitcnt lgkmcnt(0)
	s_barrier
	global_load_dword v58, v[54:55], off
	s_mov_b32 s0, 0x41a00000
	s_waitcnt vmcnt(0)
	v_cmp_ge_f32_e64 s[0:1], s0, v58
	s_and_saveexec_b64 s[4:5], s[0:1]
	s_cbranch_execz .LBB7_20
; %bb.19:
	v_mul_f32_e32 v18, 0x3fb8aa3b, v58
	s_mov_b32 s0, 0x3fb8aa3b
	v_rndne_f32_e32 v19, v18
	v_sub_f32_e32 v20, v18, v19
	v_fma_f32 v18, v58, s0, -v18
	v_fmac_f32_e32 v18, 0x32a5705f, v58
	v_add_f32_e32 v18, v20, v18
	v_exp_f32_e32 v18, v18
	v_cvt_i32_f32_e32 v19, v19
	s_mov_b32 s0, 0xc2ce8ed0
	v_cmp_ngt_f32_e64 s[0:1], s0, v58
	s_mov_b32 s2, 0x7f800000
	v_ldexp_f32 v18, v18, v19
	v_cndmask_b32_e64 v18, 0, v18, s[0:1]
	s_mov_b32 s0, 0x42b17218
	v_mov_b32_e32 v19, 0x7f800000
	v_cmp_nlt_f32_e64 s[0:1], s0, v58
	v_cndmask_b32_e64 v60, v19, v18, s[0:1]
	v_add_f32_e32 v20, 1.0, v60
	v_add_f32_e32 v18, -1.0, v20
	v_sub_f32_e32 v19, v18, v20
	v_add_f32_e32 v19, 1.0, v19
	v_sub_f32_e32 v18, v60, v18
	v_add_f32_e32 v21, v18, v19
	v_frexp_mant_f32_e32 v22, v20
	s_mov_b32 s0, 0x3f2aaaab
	v_cvt_f64_f32_e32 v[18:19], v20
	v_frexp_exp_i32_f64_e32 v18, v[18:19]
	v_cmp_gt_f32_e64 s[0:1], s0, v22
	v_subbrev_co_u32_e64 v26, s[0:1], 0, v18, s[0:1]
	v_sub_u32_e32 v18, 0, v26
	v_ldexp_f32 v19, v20, v18
	v_add_f32_e32 v20, -1.0, v19
	v_add_f32_e32 v22, 1.0, v19
	v_ldexp_f32 v18, v21, v18
	v_add_f32_e32 v21, 1.0, v20
	v_add_f32_e32 v23, -1.0, v22
	v_sub_f32_e32 v21, v19, v21
	v_sub_f32_e32 v19, v19, v23
	v_add_f32_e32 v21, v18, v21
	v_add_f32_e32 v18, v18, v19
	;; [unrolled: 1-line block ×3, first 2 shown]
	v_rcp_f32_e32 v53, v27
	v_sub_f32_e32 v19, v22, v27
	v_add_f32_e32 v52, v18, v19
	v_add_f32_e32 v19, v20, v21
	v_mul_f32_e32 v57, v19, v53
	v_sub_f32_e32 v18, v20, v19
	v_mul_f32_e32 v20, v27, v57
	v_fma_f32 v22, v57, v27, -v20
	v_fmac_f32_e32 v22, v57, v52
	v_add_f32_e32 v56, v21, v18
	v_add_f32_e32 v18, v20, v22
	v_sub_f32_e32 v21, v19, v18
	v_pk_add_f32 v[24:25], v[18:19], v[20:21] neg_lo:[0,1] neg_hi:[0,1]
	v_mov_b32_e32 v23, v18
	v_pk_add_f32 v[18:19], v[24:25], v[22:23] neg_lo:[0,1] neg_hi:[0,1]
	v_add_f32_e32 v19, v56, v19
	v_add_f32_e32 v18, v18, v19
	;; [unrolled: 1-line block ×3, first 2 shown]
	v_mul_f32_e32 v56, v53, v19
	v_mul_f32_e32 v20, v27, v56
	v_fma_f32 v22, v56, v27, -v20
	v_fmac_f32_e32 v22, v56, v52
	v_sub_f32_e32 v21, v21, v19
	v_add_f32_e32 v27, v18, v21
	v_add_f32_e32 v18, v20, v22
	v_sub_f32_e32 v21, v19, v18
	v_pk_add_f32 v[24:25], v[18:19], v[20:21] neg_lo:[0,1] neg_hi:[0,1]
	v_mov_b32_e32 v23, v18
	v_pk_add_f32 v[18:19], v[24:25], v[22:23] neg_lo:[0,1] neg_hi:[0,1]
	v_add_f32_e32 v19, v27, v19
	v_add_f32_e32 v18, v18, v19
	;; [unrolled: 1-line block ×4, first 2 shown]
	v_sub_f32_e32 v19, v21, v57
	v_mul_f32_e32 v18, v53, v18
	v_sub_f32_e32 v19, v56, v19
	v_add_f32_e32 v18, v19, v18
	v_add_f32_e32 v22, v21, v18
	v_mul_f32_e32 v24, v22, v22
	v_mov_b32_e32 v20, 0x3ecc95a3
	v_fmac_f32_e32 v20, 0x3e9b6dac, v24
	v_mov_b32_e32 v19, 0x3f2aaada
	v_fmac_f32_e32 v19, v24, v20
	v_cvt_f32_i32_e32 v20, v26
	v_sub_f32_e32 v21, v22, v21
	v_sub_f32_e32 v18, v18, v21
	v_ldexp_f32 v25, v18, 1
	v_mul_f32_e32 v21, v22, v24
	v_mov_b32_e32 v18, 0x3f317218
	s_mov_b32 s0, 0x3f317218
	v_pk_mul_f32 v[18:19], v[20:21], v[18:19]
	v_ldexp_f32 v23, v22, 1
	v_fma_f32 v22, v20, s0, -v18
	v_fmac_f32_e32 v22, 0xb102e308, v20
	v_pk_add_f32 v[20:21], v[18:19], v[22:23]
	v_sub_f32_e32 v23, v21, v23
	v_sub_f32_e32 v23, v19, v23
	v_add_f32_e32 v25, v25, v23
	v_mov_b32_e32 v24, v18
	v_pk_add_f32 v[18:19], v[20:21], v[18:19] neg_lo:[0,1] neg_hi:[0,1]
	v_pk_add_f32 v[26:27], v[20:21], v[24:25]
	v_mov_b32_e32 v19, v27
	v_mov_b32_e32 v23, v20
	v_pk_add_f32 v[52:53], v[22:23], v[18:19] neg_lo:[0,1] neg_hi:[0,1]
	v_pk_add_f32 v[18:19], v[22:23], v[18:19]
	v_mov_b32_e32 v22, v19
	v_pk_add_f32 v[56:57], v[22:23], v[20:21] neg_lo:[0,1] neg_hi:[0,1]
	v_mov_b32_e32 v23, v56
	v_pk_add_f32 v[58:59], v[26:27], v[22:23] neg_lo:[0,1] neg_hi:[0,1]
	v_mov_b32_e32 v18, v27
	v_mov_b32_e32 v26, v21
	;; [unrolled: 1-line block ×4, first 2 shown]
	v_pk_add_f32 v[18:19], v[18:19], v[26:27] neg_lo:[0,1] neg_hi:[0,1]
	v_mov_b32_e32 v24, v25
	v_mov_b32_e32 v25, v20
	v_pk_add_f32 v[18:19], v[24:25], v[18:19] neg_lo:[0,1] neg_hi:[0,1]
	v_mov_b32_e32 v58, v52
	v_pk_add_f32 v[20:21], v[58:59], v[18:19]
	v_mov_b32_e32 v24, v21
	v_pk_add_f32 v[24:25], v[20:21], v[24:25]
	v_pk_add_f32 v[22:23], v[22:23], v[24:25]
	v_mov_b32_e32 v21, v22
	v_pk_add_f32 v[26:27], v[20:21], v[52:53] neg_lo:[0,1] neg_hi:[0,1]
	v_mov_b32_e32 v19, v24
	v_sub_f32_e32 v20, v20, v26
	v_pk_add_f32 v[18:19], v[18:19], v[26:27] neg_lo:[0,1] neg_hi:[0,1]
	v_sub_f32_e32 v20, v52, v20
	v_add_f32_e32 v18, v18, v20
	v_cmp_eq_f32_e64 s[0:1], s2, v60
	s_mov_b32 s2, 0x33800000
	v_add_f32_e32 v18, v18, v19
	v_cmp_gt_f32_e64 s[2:3], s2, v60
	v_add_f32_e32 v18, v22, v18
	s_or_b64 s[0:1], s[2:3], s[0:1]
	v_cndmask_b32_e64 v58, v18, v60, s[0:1]
.LBB7_20:
	s_or_b64 exec, exec, s[4:5]
	v_mov_b32_e32 v18, s21
	v_add_co_u32_e64 v52, s[0:1], s20, v28
	v_addc_co_u32_e64 v53, s[0:1], v29, v18, s[0:1]
	global_load_dword v80, v[52:53], off
	v_pk_mul_f32 v[56:57], v[58:59], v[14:15] op_sel_hi:[0,1]
	s_mov_b32 s4, 0x3fb8aa3b
	v_mov_b32_e32 v59, 0x7f800000
	v_mul_f32_e32 v78, 0x3fb8aa3b, v57
	v_pk_mul_f32 v[60:61], v[58:59], v[16:17] op_sel_hi:[0,1]
	v_mul_f32_e32 v79, 0x3fb8aa3b, v56
	v_fma_f32 v85, v57, s4, -v78
	v_rndne_f32_e32 v89, v78
	v_mul_f32_e32 v82, 0x3fb8aa3b, v61
	v_fma_f32 v86, v56, s4, -v79
	v_rndne_f32_e32 v90, v79
	v_fmac_f32_e32 v85, 0x32a5705f, v57
	v_sub_f32_e32 v78, v78, v89
	v_mul_f32_e32 v83, 0x3fb8aa3b, v60
	v_fma_f32 v87, v61, s4, -v82
	v_rndne_f32_e32 v91, v82
	v_fmac_f32_e32 v86, 0x32a5705f, v56
	v_sub_f32_e32 v79, v79, v90
	v_add_f32_e32 v78, v78, v85
	v_fma_f32 v88, v60, s4, -v83
	v_rndne_f32_e32 v92, v83
	v_fmac_f32_e32 v87, 0x32a5705f, v61
	v_cvt_i32_f32_e32 v89, v89
	v_sub_f32_e32 v82, v82, v91
	v_add_f32_e32 v79, v79, v86
	v_exp_f32_e32 v78, v78
	v_fmac_f32_e32 v88, 0x32a5705f, v60
	v_cvt_i32_f32_e32 v90, v90
	v_sub_f32_e32 v83, v83, v92
	v_add_f32_e32 v82, v82, v87
	v_exp_f32_e32 v79, v79
	v_cvt_i32_f32_e32 v91, v91
	v_add_f32_e32 v83, v83, v88
	v_exp_f32_e32 v82, v82
	s_mov_b32 s2, 0xc2ce8ed0
	v_cvt_i32_f32_e32 v92, v92
	v_exp_f32_e32 v83, v83
	v_ldexp_f32 v78, v78, v89
	v_cmp_ngt_f32_e64 s[0:1], s2, v57
	v_ldexp_f32 v79, v79, v90
	v_cndmask_b32_e64 v78, 0, v78, s[0:1]
	v_cmp_ngt_f32_e64 s[0:1], s2, v56
	v_ldexp_f32 v82, v82, v91
	v_cndmask_b32_e64 v79, 0, v79, s[0:1]
	v_cmp_ngt_f32_e64 s[0:1], s2, v61
	s_mov_b32 s3, 0x42b17218
	v_ldexp_f32 v83, v83, v92
	v_cndmask_b32_e64 v82, 0, v82, s[0:1]
	v_cmp_ngt_f32_e64 s[0:1], s2, v60
	v_cndmask_b32_e64 v83, 0, v83, s[0:1]
	v_cmp_nlt_f32_e64 s[0:1], s3, v57
	v_mov_b32_e32 v81, 0
	v_cndmask_b32_e64 v57, v59, v78, s[0:1]
	v_cmp_nlt_f32_e64 s[0:1], s3, v56
	v_pk_mul_f32 v[76:77], v[58:59], v[10:11] op_sel_hi:[0,1]
	ds_read_b128 v[26:29], v81
	ds_read_b128 v[64:67], v81 offset:16
	ds_read_b128 v[22:25], v81 offset:32
	;; [unrolled: 1-line block ×3, first 2 shown]
	v_cndmask_b32_e64 v56, v59, v79, s[0:1]
	v_cmp_nlt_f32_e64 s[0:1], s3, v61
	v_mul_f32_e32 v84, 0x3fb8aa3b, v77
	v_cndmask_b32_e64 v79, v59, v82, s[0:1]
	v_cmp_nlt_f32_e64 s[0:1], s3, v60
	v_fma_f32 v93, v77, s4, -v84
	v_rndne_f32_e32 v94, v84
	v_fmac_f32_e32 v93, 0x32a5705f, v77
	v_sub_f32_e32 v84, v84, v94
	v_cndmask_b32_e64 v78, v59, v83, s[0:1]
	ds_read_b128 v[68:71], v81 offset:64
	ds_read_b128 v[72:75], v81 offset:80
	v_add_f32_e32 v84, v84, v93
	v_cvt_i32_f32_e32 v94, v94
	v_exp_f32_e32 v84, v84
	v_cmp_ngt_f32_e64 s[0:1], s2, v77
	s_waitcnt vmcnt(0)
	v_mul_f32_e32 v60, v58, v80
	s_waitcnt lgkmcnt(5)
	v_pk_mul_f32 v[26:27], v[60:61], v[26:27] op_sel_hi:[0,1]
	v_pk_mul_f32 v[28:29], v[60:61], v[28:29] op_sel_hi:[0,1]
	v_pk_fma_f32 v[56:57], v[30:31], v[56:57], v[26:27]
	v_mul_f32_e32 v27, 0x3fb8aa3b, v76
	v_pk_fma_f32 v[30:31], v[32:33], v[78:79], v[28:29]
	v_fma_f32 v28, v76, s4, -v27
	v_rndne_f32_e32 v29, v27
	v_fmac_f32_e32 v28, 0x32a5705f, v76
	v_sub_f32_e32 v27, v27, v29
	v_add_f32_e32 v27, v27, v28
	v_exp_f32_e32 v28, v27
	v_cvt_i32_f32_e32 v29, v29
	s_waitcnt lgkmcnt(1)
	v_fma_f32 v61, v68, v56, 0
	v_fmac_f32_e32 v61, v69, v57
	v_ldexp_f32 v26, v84, v94
	v_fmac_f32_e32 v61, v70, v30
	v_cndmask_b32_e64 v26, 0, v26, s[0:1]
	v_cmp_nlt_f32_e64 s[0:1], s3, v77
	v_fmac_f32_e32 v61, v71, v31
	v_cndmask_b32_e64 v27, v59, v26, s[0:1]
	v_ldexp_f32 v26, v28, v29
	v_cmp_ngt_f32_e64 s[0:1], s2, v76
	v_pk_mul_f32 v[32:33], v[58:59], v[12:13] op_sel_hi:[0,1]
	v_cndmask_b32_e64 v26, 0, v26, s[0:1]
	v_cmp_nlt_f32_e64 s[0:1], s3, v76
	v_pk_mul_f32 v[28:29], v[60:61], v[64:65] op_sel_hi:[0,1]
	v_mul_f32_e32 v64, 0x3fb8aa3b, v33
	v_cndmask_b32_e64 v26, v59, v26, s[0:1]
	v_fma_f32 v65, v33, s4, -v64
	v_rndne_f32_e32 v68, v64
	v_fmac_f32_e32 v65, 0x32a5705f, v33
	v_sub_f32_e32 v64, v64, v68
	v_pk_fma_f32 v[26:27], v[40:41], v[26:27], v[28:29]
	v_mul_f32_e32 v29, 0x3fb8aa3b, v32
	v_add_f32_e32 v64, v64, v65
	v_fma_f32 v40, v32, s4, -v29
	v_rndne_f32_e32 v41, v29
	v_exp_f32_e32 v64, v64
	v_cvt_i32_f32_e32 v65, v68
	v_fmac_f32_e32 v40, 0x32a5705f, v32
	v_sub_f32_e32 v29, v29, v41
	v_add_f32_e32 v29, v29, v40
	v_exp_f32_e32 v40, v29
	v_cvt_i32_f32_e32 v41, v41
	v_ldexp_f32 v28, v64, v65
	v_cmp_ngt_f32_e64 s[0:1], s2, v33
	v_cndmask_b32_e64 v28, 0, v28, s[0:1]
	v_cmp_nlt_f32_e64 s[0:1], s3, v33
	s_waitcnt lgkmcnt(0)
	v_fmac_f32_e32 v61, v72, v26
	v_cndmask_b32_e64 v29, v59, v28, s[0:1]
	v_ldexp_f32 v28, v40, v41
	v_cmp_ngt_f32_e64 s[0:1], s2, v32
	v_pk_mul_f32 v[40:41], v[58:59], v[6:7] op_sel_hi:[0,1]
	v_fmac_f32_e32 v61, v73, v27
	v_cndmask_b32_e64 v28, 0, v28, s[0:1]
	v_cmp_nlt_f32_e64 s[0:1], s3, v32
	v_mul_f32_e32 v64, 0x3fb8aa3b, v41
	v_cndmask_b32_e64 v28, v59, v28, s[0:1]
	v_pk_mul_f32 v[32:33], v[60:61], v[66:67] op_sel_hi:[0,1]
	v_fma_f32 v65, v41, s4, -v64
	v_rndne_f32_e32 v66, v64
	v_fmac_f32_e32 v65, 0x32a5705f, v41
	v_sub_f32_e32 v64, v64, v66
	v_pk_fma_f32 v[28:29], v[42:43], v[28:29], v[32:33]
	v_mul_f32_e32 v33, 0x3fb8aa3b, v40
	v_add_f32_e32 v64, v64, v65
	v_fma_f32 v42, v40, s4, -v33
	v_rndne_f32_e32 v43, v33
	v_exp_f32_e32 v64, v64
	v_cvt_i32_f32_e32 v65, v66
	v_fmac_f32_e32 v42, 0x32a5705f, v40
	v_sub_f32_e32 v33, v33, v43
	v_add_f32_e32 v33, v33, v42
	v_exp_f32_e32 v42, v33
	v_cvt_i32_f32_e32 v43, v43
	v_ldexp_f32 v32, v64, v65
	v_cmp_ngt_f32_e64 s[0:1], s2, v41
	v_cndmask_b32_e64 v32, 0, v32, s[0:1]
	v_cmp_nlt_f32_e64 s[0:1], s3, v41
	v_fmac_f32_e32 v61, v74, v28
	v_cndmask_b32_e64 v33, v59, v32, s[0:1]
	v_ldexp_f32 v32, v42, v43
	v_cmp_ngt_f32_e64 s[0:1], s2, v40
	v_fmac_f32_e32 v61, v75, v29
	v_cndmask_b32_e64 v32, 0, v32, s[0:1]
	v_cmp_nlt_f32_e64 s[0:1], s3, v40
	v_cndmask_b32_e64 v32, v59, v32, s[0:1]
	v_pk_mul_f32 v[22:23], v[60:61], v[22:23] op_sel_hi:[0,1]
	v_pk_fma_f32 v[22:23], v[44:45], v[32:33], v[22:23]
	v_pk_mul_f32 v[32:33], v[58:59], v[8:9] op_sel_hi:[0,1]
	v_mul_f32_e32 v40, 0x3fb8aa3b, v33
	v_rndne_f32_e32 v45, v40
	v_fma_f32 v44, v33, s4, -v40
	v_sub_f32_e32 v64, v40, v45
	ds_read_b128 v[40:43], v81 offset:96
	v_fmac_f32_e32 v44, 0x32a5705f, v33
	v_add_f32_e32 v44, v64, v44
	ds_read_b128 v[64:67], v81 offset:112
	v_exp_f32_e32 v44, v44
	v_cvt_i32_f32_e32 v45, v45
	s_waitcnt lgkmcnt(1)
	v_fmac_f32_e32 v61, v40, v22
	v_fmac_f32_e32 v61, v41, v23
	v_mul_f32_e32 v41, 0x3fb8aa3b, v32
	v_ldexp_f32 v40, v44, v45
	v_fma_f32 v44, v32, s4, -v41
	v_rndne_f32_e32 v45, v41
	v_fmac_f32_e32 v44, 0x32a5705f, v32
	v_sub_f32_e32 v41, v41, v45
	v_add_f32_e32 v41, v41, v44
	v_exp_f32_e32 v41, v41
	v_cvt_i32_f32_e32 v44, v45
	v_cmp_ngt_f32_e64 s[0:1], s2, v33
	v_cndmask_b32_e64 v40, 0, v40, s[0:1]
	v_cmp_nlt_f32_e64 s[0:1], s3, v33
	v_cndmask_b32_e64 v33, v59, v40, s[0:1]
	v_ldexp_f32 v40, v41, v44
	v_cmp_ngt_f32_e64 s[0:1], s2, v32
	v_cndmask_b32_e64 v40, 0, v40, s[0:1]
	v_cmp_nlt_f32_e64 s[0:1], s3, v32
	v_cndmask_b32_e64 v32, v59, v40, s[0:1]
	v_pk_mul_f32 v[40:41], v[58:59], v[2:3] op_sel_hi:[0,1]
	v_pk_mul_f32 v[24:25], v[60:61], v[24:25] op_sel_hi:[0,1]
	v_mul_f32_e32 v44, 0x3fb8aa3b, v41
	v_fma_f32 v45, v41, s4, -v44
	v_rndne_f32_e32 v68, v44
	v_pk_fma_f32 v[32:33], v[46:47], v[32:33], v[24:25]
	v_fmac_f32_e32 v45, 0x32a5705f, v41
	v_sub_f32_e32 v44, v44, v68
	v_fmac_f32_e32 v61, v42, v32
	v_mul_f32_e32 v25, 0x3fb8aa3b, v40
	v_add_f32_e32 v44, v44, v45
	v_fmac_f32_e32 v61, v43, v33
	v_fma_f32 v42, v40, s4, -v25
	v_rndne_f32_e32 v43, v25
	v_exp_f32_e32 v44, v44
	v_cvt_i32_f32_e32 v45, v68
	v_fmac_f32_e32 v42, 0x32a5705f, v40
	v_sub_f32_e32 v25, v25, v43
	v_add_f32_e32 v25, v25, v42
	v_exp_f32_e32 v42, v25
	v_cvt_i32_f32_e32 v43, v43
	v_ldexp_f32 v24, v44, v45
	v_cmp_ngt_f32_e64 s[0:1], s2, v41
	v_cndmask_b32_e64 v24, 0, v24, s[0:1]
	v_cmp_nlt_f32_e64 s[0:1], s3, v41
	v_cndmask_b32_e64 v25, v59, v24, s[0:1]
	v_ldexp_f32 v24, v42, v43
	v_cmp_ngt_f32_e64 s[0:1], s2, v40
	v_cndmask_b32_e64 v24, 0, v24, s[0:1]
	v_cmp_nlt_f32_e64 s[0:1], s3, v40
	v_pk_mul_f32 v[40:41], v[58:59], v[4:5] op_sel_hi:[0,1]
	v_mul_f32_e32 v42, 0x3fb8aa3b, v41
	v_fma_f32 v43, v41, s4, -v42
	v_rndne_f32_e32 v44, v42
	v_fmac_f32_e32 v43, 0x32a5705f, v41
	v_sub_f32_e32 v42, v42, v44
	v_add_f32_e32 v42, v42, v43
	v_exp_f32_e32 v42, v42
	v_cvt_i32_f32_e32 v43, v44
	v_cndmask_b32_e64 v24, v59, v24, s[0:1]
	v_pk_mul_f32 v[18:19], v[60:61], v[18:19] op_sel_hi:[0,1]
	v_pk_fma_f32 v[24:25], v[48:49], v[24:25], v[18:19]
	v_mul_f32_e32 v19, 0x3fb8aa3b, v40
	v_ldexp_f32 v18, v42, v43
	v_fma_f32 v42, v40, s4, -v19
	v_rndne_f32_e32 v43, v19
	v_fmac_f32_e32 v42, 0x32a5705f, v40
	v_sub_f32_e32 v19, v19, v43
	v_add_f32_e32 v19, v19, v42
	v_exp_f32_e32 v42, v19
	v_cvt_i32_f32_e32 v43, v43
	v_cmp_ngt_f32_e64 s[0:1], s2, v41
	v_cndmask_b32_e64 v18, 0, v18, s[0:1]
	v_cmp_nlt_f32_e64 s[0:1], s3, v41
	s_waitcnt lgkmcnt(0)
	v_fmac_f32_e32 v61, v64, v24
	v_cndmask_b32_e64 v19, v59, v18, s[0:1]
	v_ldexp_f32 v18, v42, v43
	v_cmp_ngt_f32_e64 s[0:1], s2, v40
	v_fmac_f32_e32 v61, v65, v25
	v_cndmask_b32_e64 v18, 0, v18, s[0:1]
	v_cmp_nlt_f32_e64 s[0:1], s3, v40
	v_cndmask_b32_e64 v18, v59, v18, s[0:1]
	v_pk_mul_f32 v[20:21], v[60:61], v[20:21] op_sel_hi:[0,1]
	v_pk_fma_f32 v[20:21], v[50:51], v[18:19], v[20:21]
	s_ashr_i64 s[0:1], s[26:27], 28
	v_fmac_f32_e32 v61, v66, v20
	v_mov_b32_e32 v19, s1
	v_add_co_u32_e64 v18, s[0:1], s0, v38
	v_fmac_f32_e32 v61, v67, v21
	v_addc_co_u32_e64 v19, s[0:1], v39, v19, s[0:1]
	global_store_dword v[18:19], v61, off
	s_barrier
	s_and_saveexec_b64 s[0:1], vcc
	s_cbranch_execz .LBB7_22
; %bb.21:
	v_mad_i64_i32 v[0:1], s[2:3], s8, 20, v[0:1]
	global_load_dword v18, v[0:1], off
	v_mad_i64_i32 v[0:1], s[2:3], s10, 20, v[36:37]
	global_load_dword v0, v[0:1], off
	s_waitcnt vmcnt(1)
	ds_write_b32 v62, v18
	s_waitcnt vmcnt(0)
	ds_write_b32 v63, v0
.LBB7_22:
	s_or_b64 exec, exec, s[0:1]
	v_mov_b32_e32 v1, s19
	v_add_co_u32_e32 v0, vcc, s18, v54
	v_addc_co_u32_e32 v1, vcc, v55, v1, vcc
	s_waitcnt lgkmcnt(0)
	s_barrier
	global_load_dword v18, v[0:1], off
	s_mov_b32 s0, 0x41a00000
	s_waitcnt vmcnt(0)
	v_cmp_ge_f32_e32 vcc, s0, v18
	s_and_saveexec_b64 s[2:3], vcc
	s_cbranch_execz .LBB7_24
; %bb.23:
	v_mul_f32_e32 v0, 0x3fb8aa3b, v18
	s_mov_b32 s0, 0x3fb8aa3b
	v_rndne_f32_e32 v1, v0
	v_sub_f32_e32 v19, v0, v1
	v_fma_f32 v0, v18, s0, -v0
	v_fmac_f32_e32 v0, 0x32a5705f, v18
	v_add_f32_e32 v0, v19, v0
	v_exp_f32_e32 v0, v0
	v_cvt_i32_f32_e32 v1, v1
	s_mov_b32 s0, 0xc2ce8ed0
	v_cmp_ngt_f32_e32 vcc, s0, v18
	s_mov_b32 s0, 0x42b17218
	v_ldexp_f32 v0, v0, v1
	v_cndmask_b32_e32 v0, 0, v0, vcc
	v_mov_b32_e32 v1, 0x7f800000
	v_cmp_nlt_f32_e32 vcc, s0, v18
	v_cndmask_b32_e32 v50, v1, v0, vcc
	v_add_f32_e32 v18, 1.0, v50
	v_add_f32_e32 v0, -1.0, v18
	v_sub_f32_e32 v1, v0, v18
	v_add_f32_e32 v1, 1.0, v1
	v_sub_f32_e32 v0, v50, v0
	v_add_f32_e32 v19, v0, v1
	v_frexp_mant_f32_e32 v36, v18
	s_mov_b32 s0, 0x3f2aaaab
	v_cvt_f64_f32_e32 v[0:1], v18
	v_frexp_exp_i32_f64_e32 v0, v[0:1]
	v_cmp_gt_f32_e32 vcc, s0, v36
	v_subbrev_co_u32_e32 v42, vcc, 0, v0, vcc
	v_sub_u32_e32 v0, 0, v42
	v_ldexp_f32 v1, v18, v0
	v_add_f32_e32 v18, -1.0, v1
	v_add_f32_e32 v36, 1.0, v1
	v_ldexp_f32 v0, v19, v0
	v_add_f32_e32 v19, 1.0, v18
	v_add_f32_e32 v37, -1.0, v36
	v_sub_f32_e32 v19, v1, v19
	v_sub_f32_e32 v1, v1, v37
	v_add_f32_e32 v19, v0, v19
	v_add_f32_e32 v0, v0, v1
	;; [unrolled: 1-line block ×3, first 2 shown]
	v_rcp_f32_e32 v45, v43
	v_sub_f32_e32 v1, v36, v43
	v_add_f32_e32 v44, v0, v1
	v_add_f32_e32 v1, v18, v19
	v_mul_f32_e32 v47, v1, v45
	v_sub_f32_e32 v0, v18, v1
	v_mul_f32_e32 v18, v43, v47
	v_fma_f32 v36, v47, v43, -v18
	v_fmac_f32_e32 v36, v47, v44
	v_add_f32_e32 v46, v19, v0
	v_add_f32_e32 v0, v18, v36
	v_sub_f32_e32 v19, v1, v0
	v_pk_add_f32 v[40:41], v[0:1], v[18:19] neg_lo:[0,1] neg_hi:[0,1]
	v_mov_b32_e32 v37, v0
	v_pk_add_f32 v[0:1], v[40:41], v[36:37] neg_lo:[0,1] neg_hi:[0,1]
	v_add_f32_e32 v1, v46, v1
	v_add_f32_e32 v0, v0, v1
	;; [unrolled: 1-line block ×3, first 2 shown]
	v_mul_f32_e32 v46, v45, v1
	v_mul_f32_e32 v18, v43, v46
	v_fma_f32 v36, v46, v43, -v18
	v_fmac_f32_e32 v36, v46, v44
	v_sub_f32_e32 v19, v19, v1
	v_add_f32_e32 v43, v0, v19
	v_add_f32_e32 v0, v18, v36
	v_sub_f32_e32 v19, v1, v0
	v_pk_add_f32 v[40:41], v[0:1], v[18:19] neg_lo:[0,1] neg_hi:[0,1]
	v_mov_b32_e32 v37, v0
	v_pk_add_f32 v[0:1], v[40:41], v[36:37] neg_lo:[0,1] neg_hi:[0,1]
	v_add_f32_e32 v1, v43, v1
	v_add_f32_e32 v0, v0, v1
	;; [unrolled: 1-line block ×4, first 2 shown]
	v_sub_f32_e32 v1, v19, v47
	v_mul_f32_e32 v0, v45, v0
	v_sub_f32_e32 v1, v46, v1
	v_add_f32_e32 v0, v1, v0
	v_add_f32_e32 v36, v19, v0
	v_mul_f32_e32 v40, v36, v36
	v_mov_b32_e32 v18, 0x3ecc95a3
	v_fmac_f32_e32 v18, 0x3e9b6dac, v40
	v_mov_b32_e32 v1, 0x3f2aaada
	v_fmac_f32_e32 v1, v40, v18
	v_cvt_f32_i32_e32 v18, v42
	v_sub_f32_e32 v19, v36, v19
	v_sub_f32_e32 v0, v0, v19
	v_ldexp_f32 v41, v0, 1
	v_mul_f32_e32 v19, v36, v40
	v_mov_b32_e32 v0, 0x3f317218
	s_mov_b32 s0, 0x3f317218
	v_pk_mul_f32 v[0:1], v[18:19], v[0:1]
	v_ldexp_f32 v37, v36, 1
	v_fma_f32 v36, v18, s0, -v0
	v_fmac_f32_e32 v36, 0xb102e308, v18
	v_pk_add_f32 v[18:19], v[0:1], v[36:37]
	v_sub_f32_e32 v37, v19, v37
	v_sub_f32_e32 v37, v1, v37
	v_add_f32_e32 v41, v41, v37
	v_mov_b32_e32 v40, v0
	v_pk_add_f32 v[0:1], v[18:19], v[0:1] neg_lo:[0,1] neg_hi:[0,1]
	v_pk_add_f32 v[42:43], v[18:19], v[40:41]
	v_mov_b32_e32 v1, v43
	v_mov_b32_e32 v37, v18
	v_pk_add_f32 v[44:45], v[36:37], v[0:1] neg_lo:[0,1] neg_hi:[0,1]
	v_pk_add_f32 v[0:1], v[36:37], v[0:1]
	v_mov_b32_e32 v36, v1
	v_pk_add_f32 v[46:47], v[36:37], v[18:19] neg_lo:[0,1] neg_hi:[0,1]
	v_mov_b32_e32 v37, v46
	v_pk_add_f32 v[48:49], v[42:43], v[36:37] neg_lo:[0,1] neg_hi:[0,1]
	v_mov_b32_e32 v0, v43
	v_mov_b32_e32 v42, v19
	;; [unrolled: 1-line block ×4, first 2 shown]
	v_pk_add_f32 v[0:1], v[0:1], v[42:43] neg_lo:[0,1] neg_hi:[0,1]
	v_mov_b32_e32 v40, v41
	v_mov_b32_e32 v41, v18
	v_pk_add_f32 v[0:1], v[40:41], v[0:1] neg_lo:[0,1] neg_hi:[0,1]
	v_mov_b32_e32 v48, v44
	v_pk_add_f32 v[18:19], v[48:49], v[0:1]
	v_mov_b32_e32 v40, v19
	v_pk_add_f32 v[40:41], v[18:19], v[40:41]
	v_pk_add_f32 v[36:37], v[36:37], v[40:41]
	v_mov_b32_e32 v19, v36
	v_pk_add_f32 v[42:43], v[18:19], v[44:45] neg_lo:[0,1] neg_hi:[0,1]
	v_mov_b32_e32 v1, v40
	v_sub_f32_e32 v18, v18, v42
	v_pk_add_f32 v[0:1], v[0:1], v[42:43] neg_lo:[0,1] neg_hi:[0,1]
	v_sub_f32_e32 v18, v44, v18
	s_mov_b32 s1, 0x7f800000
	v_add_f32_e32 v0, v0, v18
	s_mov_b32 s0, 0x33800000
	v_add_f32_e32 v0, v0, v1
	v_cmp_eq_f32_e32 vcc, s1, v50
	v_cmp_gt_f32_e64 s[0:1], s0, v50
	v_add_f32_e32 v0, v36, v0
	s_or_b64 vcc, s[0:1], vcc
	v_cndmask_b32_e32 v18, v0, v50, vcc
.LBB7_24:
	s_or_b64 exec, exec, s[2:3]
	v_mov_b32_e32 v1, s21
	v_add_co_u32_e32 v0, vcc, s20, v52
	v_addc_co_u32_e32 v1, vcc, v53, v1, vcc
	global_load_dword v19, v[0:1], off
	s_add_u32 s3, s22, s12
	v_mad_i64_i32 v[36:37], s[0:1], s16, 20, v[38:39]
	s_mov_b32 s2, 0x3fb8aa3b
	s_mul_i32 s4, s6, s25
	s_addc_u32 s5, s23, s13
	s_add_u32 s3, s3, s4
	s_addc_u32 s4, s5, 0
	s_add_u32 s3, s3, s34
	s_addc_u32 s4, s4, s33
	v_add_co_u32_e32 v34, vcc, s3, v34
	s_mov_b32 s0, 0xc2ce8ed0
	v_mov_b32_e32 v66, 0
	s_mov_b32 s1, 0x42b17218
	v_mov_b32_e32 v39, 0x7f800000
	s_waitcnt vmcnt(0)
	v_pk_mul_f32 v[62:63], v[18:19], v[14:15] op_sel_hi:[0,1]
	v_mul_f32_e32 v38, 0x3fb8aa3b, v63
	v_mul_f32_e32 v64, 0x3fb8aa3b, v62
	v_fma_f32 v68, v63, s2, -v38
	v_rndne_f32_e32 v69, v38
	v_fma_f32 v70, v62, s2, -v64
	v_rndne_f32_e32 v71, v64
	v_fmac_f32_e32 v68, 0x32a5705f, v63
	v_sub_f32_e32 v38, v38, v69
	v_pk_mul_f32 v[16:17], v[18:19], v[16:17] op_sel_hi:[0,1]
	v_fmac_f32_e32 v70, 0x32a5705f, v62
	v_sub_f32_e32 v64, v64, v71
	v_add_f32_e32 v38, v38, v68
	v_mul_f32_e32 v65, 0x3fb8aa3b, v17
	v_cvt_i32_f32_e32 v69, v69
	v_add_f32_e32 v64, v64, v70
	v_exp_f32_e32 v38, v38
	v_fma_f32 v72, v17, s2, -v65
	v_rndne_f32_e32 v73, v65
	v_cvt_i32_f32_e32 v71, v71
	v_exp_f32_e32 v64, v64
	v_mul_f32_e32 v67, 0x3fb8aa3b, v16
	v_fmac_f32_e32 v72, 0x32a5705f, v17
	v_sub_f32_e32 v65, v65, v73
	v_mov_b32_e32 v68, s4
	v_fma_f32 v74, v16, s2, -v67
	v_rndne_f32_e32 v75, v67
	v_add_f32_e32 v65, v65, v72
	v_addc_co_u32_e32 v35, vcc, v68, v35, vcc
	v_cvt_i32_f32_e32 v73, v73
	v_fmac_f32_e32 v74, 0x32a5705f, v16
	v_sub_f32_e32 v67, v67, v75
	v_exp_f32_e32 v65, v65
	v_ldexp_f32 v38, v38, v69
	v_cmp_ngt_f32_e32 vcc, s0, v63
	v_pk_mul_f32 v[50:51], v[18:19], v[10:11] op_sel_hi:[0,1]
	v_pk_mul_f32 v[48:49], v[18:19], v[12:13] op_sel_hi:[0,1]
	;; [unrolled: 1-line block ×6, first 2 shown]
	ds_read_b128 v[52:55], v66 offset:64
	ds_read_b128 v[8:11], v66 offset:80
	;; [unrolled: 1-line block ×4, first 2 shown]
	ds_read_b128 v[12:15], v66
	ds_read_b128 v[58:61], v66 offset:16
	v_add_f32_e32 v67, v67, v74
	v_ldexp_f32 v64, v64, v71
	v_cndmask_b32_e32 v38, 0, v38, vcc
	v_cmp_ngt_f32_e32 vcc, s0, v62
	v_cvt_i32_f32_e32 v75, v75
	v_exp_f32_e32 v67, v67
	v_cndmask_b32_e32 v64, 0, v64, vcc
	v_cmp_nlt_f32_e32 vcc, s1, v63
	v_cndmask_b32_e32 v63, v39, v38, vcc
	v_cmp_nlt_f32_e32 vcc, s1, v62
	v_ldexp_f32 v65, v65, v73
	v_cndmask_b32_e32 v62, v39, v64, vcc
	v_mul_f32_e32 v38, v18, v19
	v_cmp_ngt_f32_e32 vcc, s0, v17
	s_waitcnt lgkmcnt(1)
	v_pk_mul_f32 v[12:13], v[38:39], v[12:13] op_sel_hi:[0,1]
	v_cndmask_b32_e32 v18, 0, v65, vcc
	v_cmp_nlt_f32_e32 vcc, s1, v17
	v_pk_fma_f32 v[12:13], v[56:57], v[62:63], v[12:13]
	v_ldexp_f32 v19, v67, v75
	v_cndmask_b32_e32 v57, v39, v18, vcc
	v_cmp_ngt_f32_e32 vcc, s0, v16
	v_cndmask_b32_e32 v17, 0, v19, vcc
	v_cmp_nlt_f32_e32 vcc, s1, v16
	v_cndmask_b32_e32 v56, v39, v17, vcc
	v_pk_mul_f32 v[14:15], v[38:39], v[14:15] op_sel_hi:[0,1]
	v_pk_fma_f32 v[14:15], v[30:31], v[56:57], v[14:15]
	v_mul_f32_e32 v30, 0x3fb8aa3b, v51
	v_fma_f32 v31, v51, s2, -v30
	v_rndne_f32_e32 v56, v30
	v_fmac_f32_e32 v31, 0x32a5705f, v51
	v_sub_f32_e32 v30, v30, v56
	v_add_f32_e32 v30, v30, v31
	v_exp_f32_e32 v30, v30
	v_cvt_i32_f32_e32 v31, v56
	v_fma_f32 v52, v52, v12, 0
	v_fmac_f32_e32 v52, v53, v13
	v_fmac_f32_e32 v52, v54, v14
	v_ldexp_f32 v30, v30, v31
	v_mul_f32_e32 v31, 0x3fb8aa3b, v50
	v_fma_f32 v53, v50, s2, -v31
	v_rndne_f32_e32 v54, v31
	v_fmac_f32_e32 v53, 0x32a5705f, v50
	v_sub_f32_e32 v31, v31, v54
	v_add_f32_e32 v31, v31, v53
	v_exp_f32_e32 v53, v31
	v_cvt_i32_f32_e32 v54, v54
	v_cmp_ngt_f32_e32 vcc, s0, v51
	v_cndmask_b32_e32 v30, 0, v30, vcc
	v_cmp_nlt_f32_e32 vcc, s1, v51
	v_cndmask_b32_e32 v31, v39, v30, vcc
	v_ldexp_f32 v30, v53, v54
	v_cmp_ngt_f32_e32 vcc, s0, v50
	v_cndmask_b32_e32 v30, 0, v30, vcc
	v_cmp_nlt_f32_e32 vcc, s1, v50
	v_cndmask_b32_e32 v30, v39, v30, vcc
	s_waitcnt lgkmcnt(0)
	v_pk_mul_f32 v[50:51], v[38:39], v[58:59] op_sel_hi:[0,1]
	v_fmac_f32_e32 v52, v55, v15
	v_mul_f32_e32 v53, 0x3fb8aa3b, v49
	v_pk_fma_f32 v[26:27], v[26:27], v[30:31], v[50:51]
	v_fma_f32 v54, v49, s2, -v53
	v_rndne_f32_e32 v55, v53
	v_fmac_f32_e32 v52, v8, v26
	v_fmac_f32_e32 v54, 0x32a5705f, v49
	v_sub_f32_e32 v53, v53, v55
	v_fmac_f32_e32 v52, v9, v27
	v_mul_f32_e32 v9, 0x3fb8aa3b, v48
	v_add_f32_e32 v53, v53, v54
	v_fma_f32 v30, v48, s2, -v9
	v_rndne_f32_e32 v31, v9
	v_exp_f32_e32 v53, v53
	v_cvt_i32_f32_e32 v54, v55
	v_fmac_f32_e32 v30, 0x32a5705f, v48
	v_sub_f32_e32 v9, v9, v31
	v_add_f32_e32 v9, v9, v30
	v_exp_f32_e32 v30, v9
	v_cvt_i32_f32_e32 v31, v31
	v_ldexp_f32 v8, v53, v54
	v_cmp_ngt_f32_e32 vcc, s0, v49
	v_cndmask_b32_e32 v8, 0, v8, vcc
	v_cmp_nlt_f32_e32 vcc, s1, v49
	v_cndmask_b32_e32 v9, v39, v8, vcc
	v_ldexp_f32 v8, v30, v31
	v_cmp_ngt_f32_e32 vcc, s0, v48
	v_cndmask_b32_e32 v8, 0, v8, vcc
	v_cmp_nlt_f32_e32 vcc, s1, v48
	v_cndmask_b32_e32 v8, v39, v8, vcc
	v_pk_mul_f32 v[30:31], v[38:39], v[60:61] op_sel_hi:[0,1]
	v_mul_f32_e32 v48, 0x3fb8aa3b, v47
	v_fma_f32 v49, v47, s2, -v48
	v_rndne_f32_e32 v50, v48
	v_pk_fma_f32 v[28:29], v[28:29], v[8:9], v[30:31]
	v_fmac_f32_e32 v49, 0x32a5705f, v47
	v_sub_f32_e32 v48, v48, v50
	v_fmac_f32_e32 v52, v10, v28
	v_mul_f32_e32 v9, 0x3fb8aa3b, v46
	v_add_f32_e32 v48, v48, v49
	v_fmac_f32_e32 v52, v11, v29
	v_fma_f32 v10, v46, s2, -v9
	v_rndne_f32_e32 v11, v9
	v_exp_f32_e32 v48, v48
	v_cvt_i32_f32_e32 v49, v50
	v_fmac_f32_e32 v10, 0x32a5705f, v46
	v_sub_f32_e32 v9, v9, v11
	v_add_f32_e32 v9, v9, v10
	v_exp_f32_e32 v10, v9
	v_cvt_i32_f32_e32 v11, v11
	ds_read_b128 v[62:65], v66 offset:32
	ds_read_b128 v[16:19], v66 offset:48
	v_ldexp_f32 v8, v48, v49
	v_cmp_ngt_f32_e32 vcc, s0, v47
	v_cndmask_b32_e32 v8, 0, v8, vcc
	v_cmp_nlt_f32_e32 vcc, s1, v47
	v_cndmask_b32_e32 v9, v39, v8, vcc
	v_ldexp_f32 v8, v10, v11
	v_cmp_ngt_f32_e32 vcc, s0, v46
	v_cndmask_b32_e32 v8, 0, v8, vcc
	v_cmp_nlt_f32_e32 vcc, s1, v46
	v_cndmask_b32_e32 v8, v39, v8, vcc
	s_waitcnt lgkmcnt(1)
	v_pk_mul_f32 v[10:11], v[38:39], v[62:63] op_sel_hi:[0,1]
	v_mul_f32_e32 v30, 0x3fb8aa3b, v45
	v_pk_fma_f32 v[8:9], v[22:23], v[8:9], v[10:11]
	v_fma_f32 v31, v45, s2, -v30
	v_rndne_f32_e32 v46, v30
	v_fmac_f32_e32 v52, v4, v8
	v_fmac_f32_e32 v31, 0x32a5705f, v45
	v_sub_f32_e32 v30, v30, v46
	v_fmac_f32_e32 v52, v5, v9
	v_mul_f32_e32 v5, 0x3fb8aa3b, v44
	v_add_f32_e32 v30, v30, v31
	v_fma_f32 v10, v44, s2, -v5
	v_rndne_f32_e32 v11, v5
	v_exp_f32_e32 v30, v30
	v_cvt_i32_f32_e32 v31, v46
	v_fmac_f32_e32 v10, 0x32a5705f, v44
	v_sub_f32_e32 v5, v5, v11
	v_add_f32_e32 v5, v5, v10
	v_exp_f32_e32 v10, v5
	v_cvt_i32_f32_e32 v11, v11
	v_ldexp_f32 v4, v30, v31
	v_cmp_ngt_f32_e32 vcc, s0, v45
	v_cndmask_b32_e32 v4, 0, v4, vcc
	v_cmp_nlt_f32_e32 vcc, s1, v45
	v_cndmask_b32_e32 v5, v39, v4, vcc
	v_ldexp_f32 v4, v10, v11
	v_cmp_ngt_f32_e32 vcc, s0, v44
	v_cndmask_b32_e32 v4, 0, v4, vcc
	v_cmp_nlt_f32_e32 vcc, s1, v44
	v_cndmask_b32_e32 v4, v39, v4, vcc
	v_pk_mul_f32 v[10:11], v[38:39], v[64:65] op_sel_hi:[0,1]
	v_mul_f32_e32 v22, 0x3fb8aa3b, v43
	v_fma_f32 v23, v43, s2, -v22
	v_rndne_f32_e32 v30, v22
	v_pk_fma_f32 v[10:11], v[32:33], v[4:5], v[10:11]
	v_fmac_f32_e32 v23, 0x32a5705f, v43
	v_sub_f32_e32 v22, v22, v30
	v_fmac_f32_e32 v52, v6, v10
	v_mul_f32_e32 v5, 0x3fb8aa3b, v42
	v_add_f32_e32 v22, v22, v23
	v_fmac_f32_e32 v52, v7, v11
	v_fma_f32 v6, v42, s2, -v5
	v_rndne_f32_e32 v7, v5
	v_exp_f32_e32 v22, v22
	v_cvt_i32_f32_e32 v23, v30
	v_fmac_f32_e32 v6, 0x32a5705f, v42
	v_sub_f32_e32 v5, v5, v7
	v_add_f32_e32 v5, v5, v6
	v_exp_f32_e32 v6, v5
	v_cvt_i32_f32_e32 v7, v7
	v_ldexp_f32 v4, v22, v23
	v_cmp_ngt_f32_e32 vcc, s0, v43
	v_cndmask_b32_e32 v4, 0, v4, vcc
	v_cmp_nlt_f32_e32 vcc, s1, v43
	v_cndmask_b32_e32 v5, v39, v4, vcc
	v_ldexp_f32 v4, v6, v7
	v_cmp_ngt_f32_e32 vcc, s0, v42
	v_cndmask_b32_e32 v4, 0, v4, vcc
	v_cmp_nlt_f32_e32 vcc, s1, v42
	v_cndmask_b32_e32 v4, v39, v4, vcc
	s_waitcnt lgkmcnt(0)
	v_pk_mul_f32 v[6:7], v[38:39], v[16:17] op_sel_hi:[0,1]
	v_mul_f32_e32 v16, 0x3fb8aa3b, v41
	v_pk_fma_f32 v[4:5], v[24:25], v[4:5], v[6:7]
	v_fma_f32 v17, v41, s2, -v16
	v_rndne_f32_e32 v22, v16
	v_fmac_f32_e32 v52, v0, v4
	v_fmac_f32_e32 v17, 0x32a5705f, v41
	v_sub_f32_e32 v16, v16, v22
	v_fmac_f32_e32 v52, v1, v5
	v_mul_f32_e32 v1, 0x3fb8aa3b, v40
	v_add_f32_e32 v16, v16, v17
	v_fma_f32 v6, v40, s2, -v1
	v_rndne_f32_e32 v7, v1
	v_exp_f32_e32 v16, v16
	v_cvt_i32_f32_e32 v17, v22
	v_fmac_f32_e32 v6, 0x32a5705f, v40
	v_sub_f32_e32 v1, v1, v7
	v_add_f32_e32 v1, v1, v6
	v_exp_f32_e32 v6, v1
	v_cvt_i32_f32_e32 v7, v7
	v_ldexp_f32 v0, v16, v17
	v_cmp_ngt_f32_e32 vcc, s0, v41
	v_cndmask_b32_e32 v0, 0, v0, vcc
	v_cmp_nlt_f32_e32 vcc, s1, v41
	v_cndmask_b32_e32 v1, v39, v0, vcc
	v_ldexp_f32 v0, v6, v7
	v_cmp_ngt_f32_e32 vcc, s0, v40
	v_cndmask_b32_e32 v0, 0, v0, vcc
	v_cmp_nlt_f32_e32 vcc, s1, v40
	v_cndmask_b32_e32 v0, v39, v0, vcc
	v_pk_mul_f32 v[6:7], v[38:39], v[18:19] op_sel_hi:[0,1]
	v_pk_fma_f32 v[6:7], v[20:21], v[0:1], v[6:7]
	v_fmac_f32_e32 v52, v2, v6
	v_fmac_f32_e32 v52, v3, v7
	global_store_dword v[36:37], v52, off
	s_barrier
	global_store_dwordx4 v[34:35], v[12:15], off
	global_store_dwordx4 v[34:35], v[26:29], off offset:16
	global_store_dwordx4 v[34:35], v[8:11], off offset:32
	;; [unrolled: 1-line block ×3, first 2 shown]
	s_endpgm
	.section	.rodata,"a",@progbits
	.p2align	6, 0x0
	.amdhsa_kernel _Z12ssm_scan_f32ILm128ELm16ELm6EEvPKfS1_S1_S1_S1_S1_PKiPfiiiiiiiiiiilll
		.amdhsa_group_segment_fixed_size 128
		.amdhsa_private_segment_fixed_size 0
		.amdhsa_kernarg_size 136
		.amdhsa_user_sgpr_count 6
		.amdhsa_user_sgpr_private_segment_buffer 1
		.amdhsa_user_sgpr_dispatch_ptr 0
		.amdhsa_user_sgpr_queue_ptr 0
		.amdhsa_user_sgpr_kernarg_segment_ptr 1
		.amdhsa_user_sgpr_dispatch_id 0
		.amdhsa_user_sgpr_flat_scratch_init 0
		.amdhsa_user_sgpr_kernarg_preload_length 0
		.amdhsa_user_sgpr_kernarg_preload_offset 0
		.amdhsa_user_sgpr_private_segment_size 0
		.amdhsa_uses_dynamic_stack 0
		.amdhsa_system_sgpr_private_segment_wavefront_offset 0
		.amdhsa_system_sgpr_workgroup_id_x 1
		.amdhsa_system_sgpr_workgroup_id_y 1
		.amdhsa_system_sgpr_workgroup_id_z 0
		.amdhsa_system_sgpr_workgroup_info 0
		.amdhsa_system_vgpr_workitem_id 0
		.amdhsa_next_free_vgpr 95
		.amdhsa_next_free_sgpr 40
		.amdhsa_accum_offset 96
		.amdhsa_reserve_vcc 1
		.amdhsa_reserve_flat_scratch 0
		.amdhsa_float_round_mode_32 0
		.amdhsa_float_round_mode_16_64 0
		.amdhsa_float_denorm_mode_32 3
		.amdhsa_float_denorm_mode_16_64 3
		.amdhsa_dx10_clamp 1
		.amdhsa_ieee_mode 1
		.amdhsa_fp16_overflow 0
		.amdhsa_tg_split 0
		.amdhsa_exception_fp_ieee_invalid_op 0
		.amdhsa_exception_fp_denorm_src 0
		.amdhsa_exception_fp_ieee_div_zero 0
		.amdhsa_exception_fp_ieee_overflow 0
		.amdhsa_exception_fp_ieee_underflow 0
		.amdhsa_exception_fp_ieee_inexact 0
		.amdhsa_exception_int_div_zero 0
	.end_amdhsa_kernel
	.section	.text._Z12ssm_scan_f32ILm128ELm16ELm6EEvPKfS1_S1_S1_S1_S1_PKiPfiiiiiiiiiiilll,"axG",@progbits,_Z12ssm_scan_f32ILm128ELm16ELm6EEvPKfS1_S1_S1_S1_S1_PKiPfiiiiiiiiiiilll,comdat
.Lfunc_end7:
	.size	_Z12ssm_scan_f32ILm128ELm16ELm6EEvPKfS1_S1_S1_S1_S1_PKiPfiiiiiiiiiiilll, .Lfunc_end7-_Z12ssm_scan_f32ILm128ELm16ELm6EEvPKfS1_S1_S1_S1_S1_PKiPfiiiiiiiiiiilll
                                        ; -- End function
	.section	.AMDGPU.csdata,"",@progbits
; Kernel info:
; codeLenInByte = 16504
; NumSgprs: 44
; NumVgprs: 95
; NumAgprs: 0
; TotalNumVgprs: 95
; ScratchSize: 0
; MemoryBound: 0
; FloatMode: 240
; IeeeMode: 1
; LDSByteSize: 128 bytes/workgroup (compile time only)
; SGPRBlocks: 5
; VGPRBlocks: 11
; NumSGPRsForWavesPerEU: 44
; NumVGPRsForWavesPerEU: 95
; AccumOffset: 96
; Occupancy: 5
; WaveLimiterHint : 1
; COMPUTE_PGM_RSRC2:SCRATCH_EN: 0
; COMPUTE_PGM_RSRC2:USER_SGPR: 6
; COMPUTE_PGM_RSRC2:TRAP_HANDLER: 0
; COMPUTE_PGM_RSRC2:TGID_X_EN: 1
; COMPUTE_PGM_RSRC2:TGID_Y_EN: 1
; COMPUTE_PGM_RSRC2:TGID_Z_EN: 0
; COMPUTE_PGM_RSRC2:TIDIG_COMP_CNT: 0
; COMPUTE_PGM_RSRC3_GFX90A:ACCUM_OFFSET: 23
; COMPUTE_PGM_RSRC3_GFX90A:TG_SPLIT: 0
	.section	.text._Z12ssm_scan_f32ILm128ELm16ELm7EEvPKfS1_S1_S1_S1_S1_PKiPfiiiiiiiiiiilll,"axG",@progbits,_Z12ssm_scan_f32ILm128ELm16ELm7EEvPKfS1_S1_S1_S1_S1_PKiPfiiiiiiiiiiilll,comdat
	.protected	_Z12ssm_scan_f32ILm128ELm16ELm7EEvPKfS1_S1_S1_S1_S1_PKiPfiiiiiiiiiiilll ; -- Begin function _Z12ssm_scan_f32ILm128ELm16ELm7EEvPKfS1_S1_S1_S1_S1_PKiPfiiiiiiiiiiilll
	.globl	_Z12ssm_scan_f32ILm128ELm16ELm7EEvPKfS1_S1_S1_S1_S1_PKiPfiiiiiiiiiiilll
	.p2align	8
	.type	_Z12ssm_scan_f32ILm128ELm16ELm7EEvPKfS1_S1_S1_S1_S1_PKiPfiiiiiiiiiiilll,@function
_Z12ssm_scan_f32ILm128ELm16ELm7EEvPKfS1_S1_S1_S1_S1_PKiPfiiiiiiiiiiilll: ; @_Z12ssm_scan_f32ILm128ELm16ELm7EEvPKfS1_S1_S1_S1_S1_PKiPfiiiiiiiiiiilll
; %bb.0:
	s_load_dwordx16 s[8:23], s[4:5], 0x0
	s_load_dwordx8 s[24:31], s[4:5], 0x40
	s_mov_b32 s2, s7
	s_mov_b32 s7, 0
	s_lshl_b64 s[0:1], s[6:7], 2
	s_waitcnt lgkmcnt(0)
	s_add_u32 s0, s20, s0
	s_addc_u32 s1, s21, s1
	s_load_dword s0, s[0:1], 0x0
	v_mov_b32_e32 v3, 0
	s_load_dwordx4 s[36:39], s[4:5], 0x60
	v_lshlrev_b32_e32 v68, 2, v0
	v_add_u32_e32 v69, 64, v68
	s_waitcnt lgkmcnt(0)
	s_mul_i32 s0, s0, s25
	s_ashr_i32 s1, s0, 31
	s_add_u32 s0, s8, s0
	s_addc_u32 s1, s9, s1
	s_lshl_b32 s3, s2, 7
	s_ashr_i32 s8, s24, 31
	s_mul_i32 s8, s3, s8
	s_mul_hi_u32 s9, s3, s24
	s_add_i32 s8, s9, s8
	s_lshr_b32 s9, s2, 25
	s_mul_i32 s20, s9, s24
	s_add_i32 s33, s8, s20
	s_mul_i32 s34, s3, s24
	s_add_u32 s0, s0, s34
	s_addc_u32 s1, s1, s33
	s_ashr_i32 s8, s30, 31
	s_mul_i32 s8, s3, s8
	s_mul_hi_u32 s20, s3, s30
	s_add_i32 s8, s20, s8
	s_mul_i32 s9, s9, s30
	s_add_i32 s8, s8, s9
	s_mul_i32 s3, s3, s30
	s_add_u32 s3, s14, s3
	s_addc_u32 s8, s15, s8
	s_ashr_i32 s14, s30, 2
	v_mul_lo_u32 v2, s14, v0
	s_ashr_i32 s9, s24, 2
	v_lshlrev_b64 v[4:5], 2, v[2:3]
	v_mov_b32_e32 v1, s8
	v_add_co_u32_e32 v36, vcc, s3, v4
	v_mul_lo_u32 v2, s9, v0
	v_addc_co_u32_e32 v37, vcc, v1, v5, vcc
	v_lshlrev_b64 v[34:35], 2, v[2:3]
	v_mov_b32_e32 v1, s1
	v_add_co_u32_e32 v38, vcc, s0, v34
	v_addc_co_u32_e32 v39, vcc, v1, v35, vcc
	global_load_dwordx4 v[2:5], v[36:37], off offset:48
	global_load_dwordx4 v[6:9], v[36:37], off offset:32
	;; [unrolled: 1-line block ×3, first 2 shown]
	global_load_dwordx4 v[14:17], v[36:37], off
	global_load_dwordx4 v[18:21], v[38:39], off offset:48
	global_load_dwordx4 v[22:25], v[38:39], off offset:32
	;; [unrolled: 1-line block ×3, first 2 shown]
	global_load_dwordx4 v[30:33], v[38:39], off
	s_mul_i32 s0, s6, s36
	s_add_u32 s0, s16, s0
	s_mov_b32 s3, s7
	s_mul_i32 s1, s6, s38
	s_addc_u32 s7, s17, 0
	s_add_u32 s8, s18, s1
	v_cmp_gt_u32_e32 vcc, 16, v0
	v_mov_b32_e32 v1, s7
	v_add_co_u32_e64 v0, s[0:1], s0, v68
	s_addc_u32 s9, s19, 0
	v_addc_co_u32_e64 v1, s[0:1], 0, v1, s[0:1]
	v_mov_b32_e32 v37, s9
	v_add_co_u32_e64 v36, s[0:1], s8, v68
	v_addc_co_u32_e64 v37, s[0:1], 0, v37, s[0:1]
	s_and_saveexec_b64 s[0:1], vcc
	s_cbranch_execz .LBB8_2
; %bb.1:
	global_load_dword v38, v[0:1], off
	global_load_dword v39, v[36:37], off
	s_waitcnt vmcnt(1)
	ds_write_b32 v68, v38
	s_waitcnt vmcnt(0)
	ds_write_b32 v69, v39
.LBB8_2:
	s_or_b64 exec, exec, s[0:1]
	s_lshl_b64 s[16:17], s[2:3], 9
	s_mul_i32 s0, s6, s29
	s_add_u32 s0, s12, s0
	s_addc_u32 s1, s13, 0
	s_add_u32 s0, s0, s16
	s_addc_u32 s1, s1, s17
	s_waitcnt lgkmcnt(0)
	s_barrier
	global_load_dword v44, v68, s[0:1]
	v_mov_b32_e32 v38, s1
	v_add_co_u32_e64 v48, s[0:1], s0, v68
	v_addc_co_u32_e64 v49, s[0:1], 0, v38, s[0:1]
	s_mov_b32 s0, 0x41a00000
	s_waitcnt vmcnt(0)
	v_cmp_ge_f32_e64 s[0:1], s0, v44
	s_and_saveexec_b64 s[8:9], s[0:1]
	s_cbranch_execz .LBB8_4
; %bb.3:
	v_mul_f32_e32 v38, 0x3fb8aa3b, v44
	s_mov_b32 s0, 0x3fb8aa3b
	v_rndne_f32_e32 v39, v38
	v_sub_f32_e32 v40, v38, v39
	v_fma_f32 v38, v44, s0, -v38
	v_fmac_f32_e32 v38, 0x32a5705f, v44
	v_add_f32_e32 v38, v40, v38
	v_exp_f32_e32 v38, v38
	v_cvt_i32_f32_e32 v39, v39
	s_mov_b32 s0, 0xc2ce8ed0
	v_cmp_ngt_f32_e64 s[0:1], s0, v44
	s_mov_b32 s2, 0x7f800000
	v_ldexp_f32 v38, v38, v39
	v_cndmask_b32_e64 v38, 0, v38, s[0:1]
	s_mov_b32 s0, 0x42b17218
	v_mov_b32_e32 v39, 0x7f800000
	v_cmp_nlt_f32_e64 s[0:1], s0, v44
	v_cndmask_b32_e64 v56, v39, v38, s[0:1]
	v_add_f32_e32 v40, 1.0, v56
	v_add_f32_e32 v38, -1.0, v40
	v_sub_f32_e32 v39, v38, v40
	v_add_f32_e32 v39, 1.0, v39
	v_sub_f32_e32 v38, v56, v38
	v_add_f32_e32 v41, v38, v39
	v_frexp_mant_f32_e32 v42, v40
	s_mov_b32 s0, 0x3f2aaaab
	v_cvt_f64_f32_e32 v[38:39], v40
	v_frexp_exp_i32_f64_e32 v38, v[38:39]
	v_cmp_gt_f32_e64 s[0:1], s0, v42
	v_subbrev_co_u32_e64 v46, s[0:1], 0, v38, s[0:1]
	v_sub_u32_e32 v38, 0, v46
	v_ldexp_f32 v39, v40, v38
	v_add_f32_e32 v40, -1.0, v39
	v_add_f32_e32 v42, 1.0, v39
	v_ldexp_f32 v38, v41, v38
	v_add_f32_e32 v41, 1.0, v40
	v_add_f32_e32 v43, -1.0, v42
	v_sub_f32_e32 v41, v39, v41
	v_sub_f32_e32 v39, v39, v43
	v_add_f32_e32 v41, v38, v41
	v_add_f32_e32 v38, v38, v39
	;; [unrolled: 1-line block ×3, first 2 shown]
	v_rcp_f32_e32 v51, v47
	v_sub_f32_e32 v39, v42, v47
	v_add_f32_e32 v50, v38, v39
	v_add_f32_e32 v39, v40, v41
	v_mul_f32_e32 v53, v39, v51
	v_sub_f32_e32 v38, v40, v39
	v_mul_f32_e32 v40, v47, v53
	v_fma_f32 v42, v53, v47, -v40
	v_fmac_f32_e32 v42, v53, v50
	v_add_f32_e32 v52, v41, v38
	v_add_f32_e32 v38, v40, v42
	v_sub_f32_e32 v41, v39, v38
	v_pk_add_f32 v[44:45], v[38:39], v[40:41] neg_lo:[0,1] neg_hi:[0,1]
	v_mov_b32_e32 v43, v38
	v_pk_add_f32 v[38:39], v[44:45], v[42:43] neg_lo:[0,1] neg_hi:[0,1]
	v_add_f32_e32 v39, v52, v39
	v_add_f32_e32 v38, v38, v39
	v_add_f32_e32 v39, v41, v38
	v_mul_f32_e32 v52, v51, v39
	v_mul_f32_e32 v40, v47, v52
	v_fma_f32 v42, v52, v47, -v40
	v_fmac_f32_e32 v42, v52, v50
	v_sub_f32_e32 v41, v41, v39
	v_add_f32_e32 v47, v38, v41
	v_add_f32_e32 v38, v40, v42
	v_sub_f32_e32 v41, v39, v38
	v_pk_add_f32 v[44:45], v[38:39], v[40:41] neg_lo:[0,1] neg_hi:[0,1]
	v_mov_b32_e32 v43, v38
	v_pk_add_f32 v[38:39], v[44:45], v[42:43] neg_lo:[0,1] neg_hi:[0,1]
	v_add_f32_e32 v39, v47, v39
	v_add_f32_e32 v38, v38, v39
	;; [unrolled: 1-line block ×4, first 2 shown]
	v_sub_f32_e32 v39, v41, v53
	v_mul_f32_e32 v38, v51, v38
	v_sub_f32_e32 v39, v52, v39
	v_add_f32_e32 v38, v39, v38
	v_add_f32_e32 v42, v41, v38
	v_mul_f32_e32 v44, v42, v42
	v_mov_b32_e32 v40, 0x3ecc95a3
	v_fmac_f32_e32 v40, 0x3e9b6dac, v44
	v_mov_b32_e32 v39, 0x3f2aaada
	v_fmac_f32_e32 v39, v44, v40
	v_cvt_f32_i32_e32 v40, v46
	v_sub_f32_e32 v41, v42, v41
	v_sub_f32_e32 v38, v38, v41
	v_ldexp_f32 v45, v38, 1
	v_mul_f32_e32 v41, v42, v44
	v_mov_b32_e32 v38, 0x3f317218
	s_mov_b32 s0, 0x3f317218
	v_pk_mul_f32 v[38:39], v[40:41], v[38:39]
	v_ldexp_f32 v43, v42, 1
	v_fma_f32 v42, v40, s0, -v38
	v_fmac_f32_e32 v42, 0xb102e308, v40
	v_pk_add_f32 v[40:41], v[38:39], v[42:43]
	v_sub_f32_e32 v43, v41, v43
	v_sub_f32_e32 v43, v39, v43
	v_add_f32_e32 v45, v45, v43
	v_mov_b32_e32 v44, v38
	v_pk_add_f32 v[38:39], v[40:41], v[38:39] neg_lo:[0,1] neg_hi:[0,1]
	v_pk_add_f32 v[46:47], v[40:41], v[44:45]
	v_mov_b32_e32 v39, v47
	v_mov_b32_e32 v43, v40
	v_pk_add_f32 v[50:51], v[42:43], v[38:39] neg_lo:[0,1] neg_hi:[0,1]
	v_pk_add_f32 v[38:39], v[42:43], v[38:39]
	v_mov_b32_e32 v42, v39
	v_pk_add_f32 v[52:53], v[42:43], v[40:41] neg_lo:[0,1] neg_hi:[0,1]
	v_mov_b32_e32 v43, v52
	v_pk_add_f32 v[54:55], v[46:47], v[42:43] neg_lo:[0,1] neg_hi:[0,1]
	v_mov_b32_e32 v38, v47
	v_mov_b32_e32 v46, v41
	;; [unrolled: 1-line block ×4, first 2 shown]
	v_pk_add_f32 v[38:39], v[38:39], v[46:47] neg_lo:[0,1] neg_hi:[0,1]
	v_mov_b32_e32 v44, v45
	v_mov_b32_e32 v45, v40
	v_pk_add_f32 v[38:39], v[44:45], v[38:39] neg_lo:[0,1] neg_hi:[0,1]
	v_mov_b32_e32 v54, v50
	v_pk_add_f32 v[40:41], v[54:55], v[38:39]
	v_mov_b32_e32 v44, v41
	v_pk_add_f32 v[44:45], v[40:41], v[44:45]
	v_pk_add_f32 v[42:43], v[42:43], v[44:45]
	v_mov_b32_e32 v41, v42
	v_pk_add_f32 v[46:47], v[40:41], v[50:51] neg_lo:[0,1] neg_hi:[0,1]
	v_mov_b32_e32 v39, v44
	v_sub_f32_e32 v40, v40, v46
	v_pk_add_f32 v[38:39], v[38:39], v[46:47] neg_lo:[0,1] neg_hi:[0,1]
	v_sub_f32_e32 v40, v50, v40
	v_add_f32_e32 v38, v38, v40
	v_cmp_eq_f32_e64 s[0:1], s2, v56
	s_mov_b32 s2, 0x33800000
	v_add_f32_e32 v38, v38, v39
	v_cmp_gt_f32_e64 s[2:3], s2, v56
	v_add_f32_e32 v38, v42, v38
	s_or_b64 s[0:1], s[2:3], s[0:1]
	v_cndmask_b32_e64 v44, v38, v56, s[0:1]
.LBB8_4:
	s_or_b64 exec, exec, s[8:9]
	s_load_dwordx4 s[12:15], s[4:5], 0x70
	s_mul_i32 s0, s6, s27
	s_mov_b32 s19, 0x3fb8aa3b
	s_mov_b32 s7, 0xc2ce8ed0
	v_mov_b32_e32 v64, 0
	s_waitcnt lgkmcnt(0)
	s_mul_i32 s1, s6, s15
	s_mul_hi_u32 s2, s6, s14
	s_mul_i32 s3, s6, s14
	s_add_i32 s1, s2, s1
	s_mul_hi_u32 s2, s3, 28
	s_mul_i32 s1, s1, 28
	s_add_i32 s1, s2, s1
	s_mul_i32 s3, s3, 28
	s_add_u32 s2, s22, s3
	s_addc_u32 s3, s23, s1
	s_ashr_i32 s8, s31, 2
	s_add_u32 s0, s10, s0
	s_addc_u32 s1, s11, 0
	s_add_u32 s4, s0, s16
	s_addc_u32 s5, s1, s17
	global_load_dword v45, v68, s[4:5]
	s_mov_b32 s18, 0x42b17218
	v_mov_b32_e32 v65, 0x7f800000
	ds_read_b128 v[40:43], v64
	ds_read_b128 v[52:55], v64 offset:16
	s_add_u32 s2, s2, s16
	s_addc_u32 s3, s3, s17
	s_ashr_i32 s10, s37, 2
	s_ashr_i32 s9, s8, 31
	;; [unrolled: 1-line block ×3, first 2 shown]
	s_waitcnt vmcnt(0)
	v_pk_mul_f32 v[38:39], v[44:45], v[14:15] op_sel_hi:[0,1]
	v_mul_f32_e32 v50, 0x3fb8aa3b, v39
	v_pk_mul_f32 v[46:47], v[44:45], v[16:17] op_sel_hi:[0,1]
	v_mul_f32_e32 v51, 0x3fb8aa3b, v38
	v_fma_f32 v58, v39, s19, -v50
	v_rndne_f32_e32 v59, v50
	v_mul_f32_e32 v56, 0x3fb8aa3b, v47
	v_fma_f32 v60, v38, s19, -v51
	v_rndne_f32_e32 v61, v51
	v_fmac_f32_e32 v58, 0x32a5705f, v39
	v_sub_f32_e32 v50, v50, v59
	v_mul_f32_e32 v57, 0x3fb8aa3b, v46
	v_fma_f32 v62, v47, s19, -v56
	v_rndne_f32_e32 v63, v56
	v_fmac_f32_e32 v60, 0x32a5705f, v38
	v_sub_f32_e32 v51, v51, v61
	v_add_f32_e32 v50, v50, v58
	v_fma_f32 v66, v46, s19, -v57
	v_rndne_f32_e32 v67, v57
	v_cvt_i32_f32_e32 v59, v59
	v_fmac_f32_e32 v62, 0x32a5705f, v47
	v_sub_f32_e32 v56, v56, v63
	v_add_f32_e32 v51, v51, v60
	v_exp_f32_e32 v50, v50
	v_cvt_i32_f32_e32 v61, v61
	v_fmac_f32_e32 v66, 0x32a5705f, v46
	v_sub_f32_e32 v57, v57, v67
	v_add_f32_e32 v56, v56, v62
	v_exp_f32_e32 v51, v51
	v_cvt_i32_f32_e32 v63, v63
	v_add_f32_e32 v57, v57, v66
	v_exp_f32_e32 v56, v56
	v_cvt_i32_f32_e32 v67, v67
	v_exp_f32_e32 v57, v57
	v_ldexp_f32 v50, v50, v59
	v_cmp_ngt_f32_e64 s[0:1], s7, v39
	v_ldexp_f32 v51, v51, v61
	v_cndmask_b32_e64 v50, 0, v50, s[0:1]
	v_cmp_ngt_f32_e64 s[0:1], s7, v38
	v_ldexp_f32 v56, v56, v63
	v_cndmask_b32_e64 v51, 0, v51, s[0:1]
	v_cmp_ngt_f32_e64 s[0:1], s7, v47
	v_ldexp_f32 v57, v57, v67
	v_cndmask_b32_e64 v58, 0, v56, s[0:1]
	v_cmp_ngt_f32_e64 s[0:1], s7, v46
	v_cndmask_b32_e64 v60, 0, v57, s[0:1]
	v_cmp_nlt_f32_e64 s[0:1], s18, v39
	v_cndmask_b32_e64 v57, v65, v50, s[0:1]
	v_cmp_nlt_f32_e64 s[0:1], s18, v38
	;; [unrolled: 2-line block ×4, first 2 shown]
	v_mul_f32_e32 v46, v44, v45
	v_cndmask_b32_e64 v58, v65, v60, s[0:1]
	s_waitcnt lgkmcnt(1)
	v_pk_mul_f32 v[40:41], v[46:47], v[40:41] op_sel_hi:[0,1]
	v_pk_mul_f32 v[42:43], v[46:47], v[42:43] op_sel_hi:[0,1]
	v_pk_fma_f32 v[30:31], v[30:31], v[56:57], v[40:41]
	v_pk_fma_f32 v[32:33], v[32:33], v[58:59], v[42:43]
	ds_read_b128 v[40:43], v64 offset:64
	ds_read_b128 v[56:59], v64 offset:80
	v_pk_mul_f32 v[60:61], v[44:45], v[10:11] op_sel_hi:[0,1]
	v_mul_f32_e32 v45, 0x3fb8aa3b, v61
	v_fma_f32 v47, v61, s19, -v45
	s_waitcnt lgkmcnt(1)
	v_fma_f32 v66, v40, v30, 0
	v_rndne_f32_e32 v62, v45
	v_fmac_f32_e32 v66, v41, v31
	v_fmac_f32_e32 v47, 0x32a5705f, v61
	v_sub_f32_e32 v45, v45, v62
	v_fmac_f32_e32 v66, v42, v32
	v_mul_f32_e32 v41, 0x3fb8aa3b, v60
	v_add_f32_e32 v45, v45, v47
	v_fmac_f32_e32 v66, v43, v33
	v_fma_f32 v42, v60, s19, -v41
	v_rndne_f32_e32 v43, v41
	v_mov_b32_e32 v38, s5
	v_add_co_u32_e64 v50, s[0:1], s4, v68
	v_exp_f32_e32 v40, v45
	v_cvt_i32_f32_e32 v45, v62
	v_fmac_f32_e32 v42, 0x32a5705f, v60
	v_sub_f32_e32 v41, v41, v43
	v_addc_co_u32_e64 v51, s[0:1], 0, v38, s[0:1]
	v_add_f32_e32 v41, v41, v42
	v_mov_b32_e32 v39, s3
	v_add_co_u32_e64 v38, s[0:1], s2, v68
	v_exp_f32_e32 v42, v41
	v_cvt_i32_f32_e32 v43, v43
	v_addc_co_u32_e64 v39, s[0:1], 0, v39, s[0:1]
	v_ldexp_f32 v40, v40, v45
	v_cmp_ngt_f32_e64 s[0:1], s7, v61
	v_cndmask_b32_e64 v40, 0, v40, s[0:1]
	v_cmp_nlt_f32_e64 s[0:1], s18, v61
	v_cndmask_b32_e64 v41, v65, v40, s[0:1]
	v_ldexp_f32 v40, v42, v43
	v_pk_mul_f32 v[42:43], v[44:45], v[12:13] op_sel_hi:[0,1]
	v_mul_f32_e32 v45, 0x3fb8aa3b, v43
	v_fma_f32 v47, v43, s19, -v45
	v_rndne_f32_e32 v61, v45
	v_fmac_f32_e32 v47, 0x32a5705f, v43
	v_sub_f32_e32 v45, v45, v61
	v_add_f32_e32 v45, v45, v47
	v_cvt_i32_f32_e32 v47, v61
	v_cmp_ngt_f32_e64 s[0:1], s7, v60
	v_cndmask_b32_e64 v40, 0, v40, s[0:1]
	v_cmp_nlt_f32_e64 s[0:1], s18, v60
	v_cndmask_b32_e64 v40, v65, v40, s[0:1]
	v_pk_mul_f32 v[52:53], v[46:47], v[52:53] op_sel_hi:[0,1]
	v_pk_fma_f32 v[52:53], v[26:27], v[40:41], v[52:53]
	v_mul_f32_e32 v27, 0x3fb8aa3b, v42
	v_fma_f32 v40, v42, s19, -v27
	v_rndne_f32_e32 v41, v27
	v_exp_f32_e32 v45, v45
	v_fmac_f32_e32 v40, 0x32a5705f, v42
	v_sub_f32_e32 v27, v27, v41
	v_add_f32_e32 v27, v27, v40
	v_exp_f32_e32 v40, v27
	v_cvt_i32_f32_e32 v41, v41
	v_ldexp_f32 v26, v45, v47
	v_cmp_ngt_f32_e64 s[0:1], s7, v43
	v_cndmask_b32_e64 v26, 0, v26, s[0:1]
	v_cmp_nlt_f32_e64 s[0:1], s18, v43
	v_cndmask_b32_e64 v27, v65, v26, s[0:1]
	v_ldexp_f32 v26, v40, v41
	v_cmp_ngt_f32_e64 s[0:1], s7, v42
	v_cndmask_b32_e64 v26, 0, v26, s[0:1]
	v_cmp_nlt_f32_e64 s[0:1], s18, v42
	v_cndmask_b32_e64 v26, v65, v26, s[0:1]
	v_pk_mul_f32 v[40:41], v[46:47], v[54:55] op_sel_hi:[0,1]
	v_pk_mul_f32 v[42:43], v[44:45], v[6:7] op_sel_hi:[0,1]
	v_pk_fma_f32 v[40:41], v[28:29], v[26:27], v[40:41]
	v_mul_f32_e32 v26, 0x3fb8aa3b, v43
	v_fma_f32 v27, v43, s19, -v26
	v_rndne_f32_e32 v45, v26
	v_fmac_f32_e32 v27, 0x32a5705f, v43
	v_sub_f32_e32 v26, v26, v45
	v_add_f32_e32 v47, v26, v27
	v_exp_f32_e32 v47, v47
	v_cvt_i32_f32_e32 v45, v45
	v_cmp_ngt_f32_e64 s[0:1], s7, v43
	s_waitcnt lgkmcnt(0)
	v_fmac_f32_e32 v66, v56, v52
	v_fmac_f32_e32 v66, v57, v53
	v_ldexp_f32 v45, v47, v45
	v_mul_f32_e32 v47, 0x3fb8aa3b, v42
	v_fma_f32 v54, v42, s19, -v47
	v_rndne_f32_e32 v55, v47
	v_fmac_f32_e32 v54, 0x32a5705f, v42
	v_sub_f32_e32 v47, v47, v55
	v_add_f32_e32 v47, v47, v54
	v_exp_f32_e32 v47, v47
	v_cvt_i32_f32_e32 v54, v55
	v_cndmask_b32_e64 v45, 0, v45, s[0:1]
	v_cmp_nlt_f32_e64 s[0:1], s18, v43
	v_cndmask_b32_e64 v43, v65, v45, s[0:1]
	v_ldexp_f32 v45, v47, v54
	v_cmp_ngt_f32_e64 s[0:1], s7, v42
	v_cndmask_b32_e64 v45, 0, v45, s[0:1]
	v_pk_mul_f32 v[56:57], v[44:45], v[8:9] op_sel_hi:[0,1]
	v_mul_f32_e32 v47, 0x3fb8aa3b, v57
	v_fma_f32 v54, v57, s19, -v47
	v_rndne_f32_e32 v55, v47
	v_fmac_f32_e32 v54, 0x32a5705f, v57
	v_sub_f32_e32 v47, v47, v55
	v_add_f32_e32 v47, v47, v54
	ds_read_b128 v[26:29], v64 offset:32
	ds_read_b128 v[60:63], v64 offset:48
	v_exp_f32_e32 v47, v47
	v_cmp_nlt_f32_e64 s[0:1], s18, v42
	v_cndmask_b32_e64 v42, v65, v45, s[0:1]
	v_fmac_f32_e32 v66, v58, v40
	s_waitcnt lgkmcnt(1)
	v_pk_mul_f32 v[26:27], v[46:47], v[26:27] op_sel_hi:[0,1]
	v_cvt_i32_f32_e32 v58, v55
	v_pk_fma_f32 v[54:55], v[22:23], v[42:43], v[26:27]
	v_mul_f32_e32 v23, 0x3fb8aa3b, v56
	v_fma_f32 v26, v56, s19, -v23
	v_rndne_f32_e32 v27, v23
	v_fmac_f32_e32 v26, 0x32a5705f, v56
	v_sub_f32_e32 v23, v23, v27
	v_add_f32_e32 v23, v23, v26
	v_exp_f32_e32 v26, v23
	v_cvt_i32_f32_e32 v27, v27
	v_ldexp_f32 v22, v47, v58
	v_cmp_ngt_f32_e64 s[0:1], s7, v57
	v_cndmask_b32_e64 v22, 0, v22, s[0:1]
	v_cmp_nlt_f32_e64 s[0:1], s18, v57
	v_cndmask_b32_e64 v23, v65, v22, s[0:1]
	v_ldexp_f32 v22, v26, v27
	v_cmp_ngt_f32_e64 s[0:1], s7, v56
	v_cndmask_b32_e64 v22, 0, v22, s[0:1]
	v_cmp_nlt_f32_e64 s[0:1], s18, v56
	v_cndmask_b32_e64 v22, v65, v22, s[0:1]
	v_pk_mul_f32 v[26:27], v[46:47], v[28:29] op_sel_hi:[0,1]
	v_pk_fma_f32 v[42:43], v[24:25], v[22:23], v[26:27]
	v_pk_mul_f32 v[26:27], v[44:45], v[2:3] op_sel_hi:[0,1]
	v_mul_f32_e32 v28, 0x3fb8aa3b, v27
	v_fma_f32 v29, v27, s19, -v28
	v_rndne_f32_e32 v45, v28
	v_fmac_f32_e32 v29, 0x32a5705f, v27
	v_sub_f32_e32 v28, v28, v45
	v_add_f32_e32 v28, v28, v29
	v_exp_f32_e32 v28, v28
	v_cvt_i32_f32_e32 v29, v45
	v_fmac_f32_e32 v66, v59, v41
	ds_read_b128 v[56:59], v64 offset:96
	ds_read_b128 v[22:25], v64 offset:112
	v_ldexp_f32 v28, v28, v29
	v_mul_f32_e32 v29, 0x3fb8aa3b, v26
	v_fma_f32 v45, v26, s19, -v29
	v_rndne_f32_e32 v47, v29
	v_fmac_f32_e32 v45, 0x32a5705f, v26
	v_sub_f32_e32 v29, v29, v47
	v_add_f32_e32 v29, v29, v45
	v_exp_f32_e32 v29, v29
	v_cvt_i32_f32_e32 v45, v47
	v_cmp_ngt_f32_e64 s[0:1], s7, v27
	s_waitcnt lgkmcnt(1)
	v_fmac_f32_e32 v66, v56, v54
	v_cndmask_b32_e64 v28, 0, v28, s[0:1]
	v_cmp_nlt_f32_e64 s[0:1], s18, v27
	v_fmac_f32_e32 v66, v57, v55
	v_cndmask_b32_e64 v27, v65, v28, s[0:1]
	v_ldexp_f32 v28, v29, v45
	v_cmp_ngt_f32_e64 s[0:1], s7, v26
	v_pk_mul_f32 v[56:57], v[44:45], v[4:5] op_sel_hi:[0,1]
	v_cndmask_b32_e64 v28, 0, v28, s[0:1]
	v_cmp_nlt_f32_e64 s[0:1], s18, v26
	v_mul_f32_e32 v44, 0x3fb8aa3b, v57
	v_cndmask_b32_e64 v26, v65, v28, s[0:1]
	v_pk_mul_f32 v[28:29], v[46:47], v[60:61] op_sel_hi:[0,1]
	v_fma_f32 v45, v57, s19, -v44
	v_rndne_f32_e32 v47, v44
	v_fmac_f32_e32 v45, 0x32a5705f, v57
	v_sub_f32_e32 v44, v44, v47
	v_fmac_f32_e32 v66, v58, v42
	v_add_f32_e32 v44, v44, v45
	v_fmac_f32_e32 v66, v59, v43
	v_exp_f32_e32 v58, v44
	v_pk_fma_f32 v[44:45], v[18:19], v[26:27], v[28:29]
	s_waitcnt lgkmcnt(0)
	v_fmac_f32_e32 v66, v22, v44
	v_mul_f32_e32 v19, 0x3fb8aa3b, v56
	v_fmac_f32_e32 v66, v23, v45
	v_fma_f32 v22, v56, s19, -v19
	v_rndne_f32_e32 v23, v19
	v_cvt_i32_f32_e32 v47, v47
	v_fmac_f32_e32 v22, 0x32a5705f, v56
	v_sub_f32_e32 v19, v19, v23
	v_add_f32_e32 v19, v19, v22
	v_exp_f32_e32 v22, v19
	v_cvt_i32_f32_e32 v23, v23
	v_ldexp_f32 v18, v58, v47
	v_cmp_ngt_f32_e64 s[0:1], s7, v57
	v_cndmask_b32_e64 v18, 0, v18, s[0:1]
	v_cmp_nlt_f32_e64 s[0:1], s18, v57
	v_cndmask_b32_e64 v19, v65, v18, s[0:1]
	v_ldexp_f32 v18, v22, v23
	v_cmp_ngt_f32_e64 s[0:1], s7, v56
	v_cndmask_b32_e64 v18, 0, v18, s[0:1]
	v_cmp_nlt_f32_e64 s[0:1], s18, v56
	v_cndmask_b32_e64 v18, v65, v18, s[0:1]
	v_pk_mul_f32 v[22:23], v[46:47], v[62:63] op_sel_hi:[0,1]
	v_pk_fma_f32 v[46:47], v[20:21], v[18:19], v[22:23]
	v_fmac_f32_e32 v66, v24, v46
	v_fmac_f32_e32 v66, v25, v47
	global_store_dword v68, v66, s[2:3]
	s_barrier
	s_and_saveexec_b64 s[2:3], vcc
	s_cbranch_execz .LBB8_6
; %bb.5:
	s_lshl_b64 s[0:1], s[8:9], 2
	v_mov_b32_e32 v19, s1
	v_add_co_u32_e64 v18, s[0:1], s0, v0
	v_addc_co_u32_e64 v19, s[0:1], v1, v19, s[0:1]
	s_lshl_b64 s[0:1], s[10:11], 2
	global_load_dword v20, v[18:19], off
	v_mov_b32_e32 v19, s1
	v_add_co_u32_e64 v18, s[0:1], s0, v36
	v_addc_co_u32_e64 v19, s[0:1], v37, v19, s[0:1]
	global_load_dword v18, v[18:19], off
	s_waitcnt vmcnt(1)
	ds_write_b32 v68, v20
	s_waitcnt vmcnt(0)
	ds_write_b32 v69, v18
.LBB8_6:
	s_or_b64 exec, exec, s[2:3]
	s_ashr_i32 s0, s28, 2
	s_ashr_i32 s1, s0, 31
	s_lshl_b64 s[16:17], s[0:1], 2
	v_mov_b32_e32 v18, s17
	v_add_co_u32_e64 v48, s[0:1], s16, v48
	v_addc_co_u32_e64 v49, s[0:1], v49, v18, s[0:1]
	s_waitcnt lgkmcnt(0)
	s_barrier
	global_load_dword v56, v[48:49], off
	s_mov_b32 s0, 0x41a00000
	s_waitcnt vmcnt(0)
	v_cmp_ge_f32_e64 s[0:1], s0, v56
	s_and_saveexec_b64 s[4:5], s[0:1]
	s_cbranch_execz .LBB8_8
; %bb.7:
	v_mul_f32_e32 v18, 0x3fb8aa3b, v56
	s_mov_b32 s0, 0x3fb8aa3b
	v_rndne_f32_e32 v19, v18
	v_sub_f32_e32 v20, v18, v19
	v_fma_f32 v18, v56, s0, -v18
	v_fmac_f32_e32 v18, 0x32a5705f, v56
	v_add_f32_e32 v18, v20, v18
	v_exp_f32_e32 v18, v18
	v_cvt_i32_f32_e32 v19, v19
	s_mov_b32 s0, 0xc2ce8ed0
	v_cmp_ngt_f32_e64 s[0:1], s0, v56
	s_mov_b32 s2, 0x7f800000
	v_ldexp_f32 v18, v18, v19
	v_cndmask_b32_e64 v18, 0, v18, s[0:1]
	s_mov_b32 s0, 0x42b17218
	v_mov_b32_e32 v19, 0x7f800000
	v_cmp_nlt_f32_e64 s[0:1], s0, v56
	v_cndmask_b32_e64 v60, v19, v18, s[0:1]
	v_add_f32_e32 v20, 1.0, v60
	v_add_f32_e32 v18, -1.0, v20
	v_sub_f32_e32 v19, v18, v20
	v_add_f32_e32 v19, 1.0, v19
	v_sub_f32_e32 v18, v60, v18
	v_add_f32_e32 v21, v18, v19
	v_frexp_mant_f32_e32 v22, v20
	s_mov_b32 s0, 0x3f2aaaab
	v_cvt_f64_f32_e32 v[18:19], v20
	v_frexp_exp_i32_f64_e32 v18, v[18:19]
	v_cmp_gt_f32_e64 s[0:1], s0, v22
	v_subbrev_co_u32_e64 v26, s[0:1], 0, v18, s[0:1]
	v_sub_u32_e32 v18, 0, v26
	v_ldexp_f32 v19, v20, v18
	v_add_f32_e32 v20, -1.0, v19
	v_add_f32_e32 v22, 1.0, v19
	v_ldexp_f32 v18, v21, v18
	v_add_f32_e32 v21, 1.0, v20
	v_add_f32_e32 v23, -1.0, v22
	v_sub_f32_e32 v21, v19, v21
	v_sub_f32_e32 v19, v19, v23
	v_add_f32_e32 v21, v18, v21
	v_add_f32_e32 v18, v18, v19
	;; [unrolled: 1-line block ×3, first 2 shown]
	v_rcp_f32_e32 v29, v27
	v_sub_f32_e32 v19, v22, v27
	v_add_f32_e32 v28, v18, v19
	v_add_f32_e32 v19, v20, v21
	v_mul_f32_e32 v57, v19, v29
	v_sub_f32_e32 v18, v20, v19
	v_mul_f32_e32 v20, v27, v57
	v_fma_f32 v22, v57, v27, -v20
	v_fmac_f32_e32 v22, v57, v28
	v_add_f32_e32 v56, v21, v18
	v_add_f32_e32 v18, v20, v22
	v_sub_f32_e32 v21, v19, v18
	v_pk_add_f32 v[24:25], v[18:19], v[20:21] neg_lo:[0,1] neg_hi:[0,1]
	v_mov_b32_e32 v23, v18
	v_pk_add_f32 v[18:19], v[24:25], v[22:23] neg_lo:[0,1] neg_hi:[0,1]
	v_add_f32_e32 v19, v56, v19
	v_add_f32_e32 v18, v18, v19
	;; [unrolled: 1-line block ×3, first 2 shown]
	v_mul_f32_e32 v56, v29, v19
	v_mul_f32_e32 v20, v27, v56
	v_fma_f32 v22, v56, v27, -v20
	v_fmac_f32_e32 v22, v56, v28
	v_sub_f32_e32 v21, v21, v19
	v_add_f32_e32 v27, v18, v21
	v_add_f32_e32 v18, v20, v22
	v_sub_f32_e32 v21, v19, v18
	v_pk_add_f32 v[24:25], v[18:19], v[20:21] neg_lo:[0,1] neg_hi:[0,1]
	v_mov_b32_e32 v23, v18
	v_pk_add_f32 v[18:19], v[24:25], v[22:23] neg_lo:[0,1] neg_hi:[0,1]
	v_add_f32_e32 v19, v27, v19
	v_add_f32_e32 v18, v18, v19
	;; [unrolled: 1-line block ×4, first 2 shown]
	v_sub_f32_e32 v19, v21, v57
	v_mul_f32_e32 v18, v29, v18
	v_sub_f32_e32 v19, v56, v19
	v_add_f32_e32 v18, v19, v18
	v_add_f32_e32 v22, v21, v18
	v_mul_f32_e32 v24, v22, v22
	v_mov_b32_e32 v20, 0x3ecc95a3
	v_fmac_f32_e32 v20, 0x3e9b6dac, v24
	v_mov_b32_e32 v19, 0x3f2aaada
	v_fmac_f32_e32 v19, v24, v20
	v_cvt_f32_i32_e32 v20, v26
	v_sub_f32_e32 v21, v22, v21
	v_sub_f32_e32 v18, v18, v21
	v_ldexp_f32 v25, v18, 1
	v_mul_f32_e32 v21, v22, v24
	v_mov_b32_e32 v18, 0x3f317218
	s_mov_b32 s0, 0x3f317218
	v_pk_mul_f32 v[18:19], v[20:21], v[18:19]
	v_ldexp_f32 v23, v22, 1
	v_fma_f32 v22, v20, s0, -v18
	v_fmac_f32_e32 v22, 0xb102e308, v20
	v_pk_add_f32 v[20:21], v[18:19], v[22:23]
	v_sub_f32_e32 v23, v21, v23
	v_sub_f32_e32 v23, v19, v23
	v_add_f32_e32 v25, v25, v23
	v_mov_b32_e32 v24, v18
	v_pk_add_f32 v[18:19], v[20:21], v[18:19] neg_lo:[0,1] neg_hi:[0,1]
	v_pk_add_f32 v[26:27], v[20:21], v[24:25]
	v_mov_b32_e32 v19, v27
	v_mov_b32_e32 v23, v20
	v_pk_add_f32 v[28:29], v[22:23], v[18:19] neg_lo:[0,1] neg_hi:[0,1]
	v_pk_add_f32 v[18:19], v[22:23], v[18:19]
	v_mov_b32_e32 v22, v19
	v_pk_add_f32 v[56:57], v[22:23], v[20:21] neg_lo:[0,1] neg_hi:[0,1]
	v_mov_b32_e32 v23, v56
	v_pk_add_f32 v[58:59], v[26:27], v[22:23] neg_lo:[0,1] neg_hi:[0,1]
	v_mov_b32_e32 v18, v27
	v_mov_b32_e32 v26, v21
	;; [unrolled: 1-line block ×4, first 2 shown]
	v_pk_add_f32 v[18:19], v[18:19], v[26:27] neg_lo:[0,1] neg_hi:[0,1]
	v_mov_b32_e32 v24, v25
	v_mov_b32_e32 v25, v20
	v_pk_add_f32 v[18:19], v[24:25], v[18:19] neg_lo:[0,1] neg_hi:[0,1]
	v_mov_b32_e32 v58, v28
	v_pk_add_f32 v[20:21], v[58:59], v[18:19]
	v_mov_b32_e32 v24, v21
	v_pk_add_f32 v[24:25], v[20:21], v[24:25]
	v_pk_add_f32 v[22:23], v[22:23], v[24:25]
	v_mov_b32_e32 v21, v22
	v_pk_add_f32 v[26:27], v[20:21], v[28:29] neg_lo:[0,1] neg_hi:[0,1]
	v_mov_b32_e32 v19, v24
	v_sub_f32_e32 v20, v20, v26
	v_pk_add_f32 v[18:19], v[18:19], v[26:27] neg_lo:[0,1] neg_hi:[0,1]
	v_sub_f32_e32 v20, v28, v20
	v_add_f32_e32 v18, v18, v20
	v_cmp_eq_f32_e64 s[0:1], s2, v60
	s_mov_b32 s2, 0x33800000
	v_add_f32_e32 v18, v18, v19
	v_cmp_gt_f32_e64 s[2:3], s2, v60
	v_add_f32_e32 v18, v22, v18
	s_or_b64 s[0:1], s[2:3], s[0:1]
	v_cndmask_b32_e64 v56, v18, v60, s[0:1]
.LBB8_8:
	s_or_b64 exec, exec, s[4:5]
	s_ashr_i32 s0, s26, 2
	s_ashr_i32 s1, s0, 31
	s_lshl_b64 s[18:19], s[0:1], 2
	v_mov_b32_e32 v18, s19
	v_add_co_u32_e64 v50, s[0:1], s18, v50
	v_addc_co_u32_e64 v51, s[0:1], v51, v18, s[0:1]
	global_load_dword v57, v[50:51], off
	s_mov_b32 s24, 0x3fb8aa3b
	s_bfe_i64 s[20:21], s[14:15], 0x200000
	v_mov_b32_e32 v80, 0
	s_mov_b32 s15, 0x42b17218
	v_mov_b32_e32 v81, 0x7f800000
	ds_read_b128 v[26:29], v80
	ds_read_b128 v[60:63], v80 offset:16
	ds_read_b128 v[22:25], v80 offset:32
	;; [unrolled: 1-line block ×3, first 2 shown]
	s_mov_b32 s26, 0
	s_waitcnt vmcnt(0)
	v_pk_mul_f32 v[58:59], v[56:57], v[14:15] op_sel_hi:[0,1]
	v_mul_f32_e32 v64, 0x3fb8aa3b, v59
	v_pk_mul_f32 v[74:75], v[56:57], v[16:17] op_sel_hi:[0,1]
	v_mul_f32_e32 v65, 0x3fb8aa3b, v58
	v_fma_f32 v71, v59, s24, -v64
	v_rndne_f32_e32 v72, v64
	v_mul_f32_e32 v66, 0x3fb8aa3b, v75
	v_fma_f32 v73, v58, s24, -v65
	v_rndne_f32_e32 v78, v65
	v_fmac_f32_e32 v71, 0x32a5705f, v59
	v_sub_f32_e32 v64, v64, v72
	v_mul_f32_e32 v67, 0x3fb8aa3b, v74
	v_fma_f32 v79, v75, s24, -v66
	v_rndne_f32_e32 v82, v66
	v_add_f32_e32 v64, v64, v71
	v_fmac_f32_e32 v73, 0x32a5705f, v58
	v_sub_f32_e32 v65, v65, v78
	v_fma_f32 v83, v74, s24, -v67
	v_rndne_f32_e32 v84, v67
	v_add_f32_e32 v65, v65, v73
	v_cvt_i32_f32_e32 v72, v72
	v_fmac_f32_e32 v79, 0x32a5705f, v75
	v_sub_f32_e32 v66, v66, v82
	v_exp_f32_e32 v64, v64
	v_cvt_i32_f32_e32 v73, v78
	v_fmac_f32_e32 v83, 0x32a5705f, v74
	v_sub_f32_e32 v67, v67, v84
	v_add_f32_e32 v66, v66, v79
	v_exp_f32_e32 v65, v65
	v_cvt_i32_f32_e32 v78, v82
	v_add_f32_e32 v67, v67, v83
	v_exp_f32_e32 v66, v66
	v_cvt_i32_f32_e32 v82, v84
	v_exp_f32_e32 v79, v67
	v_ldexp_f32 v64, v64, v72
	v_cmp_ngt_f32_e64 s[0:1], s7, v59
	v_ldexp_f32 v65, v65, v73
	v_cndmask_b32_e64 v84, 0, v64, s[0:1]
	v_cmp_ngt_f32_e64 s[0:1], s7, v58
	v_pk_mul_f32 v[76:77], v[56:57], v[10:11] op_sel_hi:[0,1]
	v_ldexp_f32 v78, v66, v78
	v_cndmask_b32_e64 v86, 0, v65, s[0:1]
	v_cmp_nlt_f32_e64 s[0:1], s15, v59
	v_cmp_ngt_f32_e64 s[4:5], s7, v75
	v_mul_f32_e32 v70, 0x3fb8aa3b, v77
	v_cmp_nlt_f32_e64 s[2:3], s15, v58
	v_ldexp_f32 v58, v79, v82
	v_cndmask_b32_e64 v59, 0, v78, s[4:5]
	v_cmp_ngt_f32_e64 s[4:5], s7, v74
	v_cndmask_b32_e64 v79, v81, v84, s[0:1]
	v_cmp_nlt_f32_e64 s[0:1], s15, v75
	v_fma_f32 v71, v77, s24, -v70
	v_rndne_f32_e32 v85, v70
	v_cndmask_b32_e64 v58, 0, v58, s[4:5]
	v_cndmask_b32_e64 v75, v81, v59, s[0:1]
	v_cmp_nlt_f32_e64 s[0:1], s15, v74
	v_fmac_f32_e32 v71, 0x32a5705f, v77
	v_sub_f32_e32 v70, v70, v85
	v_cndmask_b32_e64 v74, v81, v58, s[0:1]
	v_mul_f32_e32 v58, v56, v57
	v_add_f32_e32 v83, v70, v71
	v_cndmask_b32_e64 v78, v81, v86, s[2:3]
	s_waitcnt lgkmcnt(3)
	v_pk_mul_f32 v[26:27], v[58:59], v[26:27] op_sel_hi:[0,1]
	v_pk_fma_f32 v[26:27], v[30:31], v[78:79], v[26:27]
	v_exp_f32_e32 v30, v83
	v_cvt_i32_f32_e32 v31, v85
	ds_read_b128 v[64:67], v80 offset:64
	ds_read_b128 v[70:73], v80 offset:80
	v_pk_mul_f32 v[28:29], v[58:59], v[28:29] op_sel_hi:[0,1]
	v_pk_fma_f32 v[28:29], v[32:33], v[74:75], v[28:29]
	v_ldexp_f32 v30, v30, v31
	v_mul_f32_e32 v31, 0x3fb8aa3b, v76
	v_fma_f32 v32, v76, s24, -v31
	v_rndne_f32_e32 v33, v31
	v_fmac_f32_e32 v32, 0x32a5705f, v76
	v_sub_f32_e32 v31, v31, v33
	v_add_f32_e32 v31, v31, v32
	s_waitcnt lgkmcnt(1)
	v_fma_f32 v57, v64, v26, 0
	v_exp_f32_e32 v32, v31
	v_cvt_i32_f32_e32 v33, v33
	v_fmac_f32_e32 v57, v65, v27
	v_fmac_f32_e32 v57, v66, v28
	v_cmp_ngt_f32_e64 s[0:1], s7, v77
	v_fmac_f32_e32 v57, v67, v29
	v_cndmask_b32_e64 v30, 0, v30, s[0:1]
	v_cmp_nlt_f32_e64 s[0:1], s15, v77
	v_cndmask_b32_e64 v31, v81, v30, s[0:1]
	v_ldexp_f32 v30, v32, v33
	v_cmp_ngt_f32_e64 s[0:1], s7, v76
	v_pk_mul_f32 v[32:33], v[58:59], v[60:61] op_sel_hi:[0,1]
	v_pk_mul_f32 v[60:61], v[56:57], v[12:13] op_sel_hi:[0,1]
	v_cndmask_b32_e64 v30, 0, v30, s[0:1]
	v_cmp_nlt_f32_e64 s[0:1], s15, v76
	v_mul_f32_e32 v59, 0x3fb8aa3b, v61
	v_cndmask_b32_e64 v30, v81, v30, s[0:1]
	v_fma_f32 v64, v61, s24, -v59
	v_rndne_f32_e32 v65, v59
	v_fmac_f32_e32 v64, 0x32a5705f, v61
	v_sub_f32_e32 v59, v59, v65
	v_pk_fma_f32 v[30:31], v[52:53], v[30:31], v[32:33]
	v_mul_f32_e32 v33, 0x3fb8aa3b, v60
	v_add_f32_e32 v59, v59, v64
	v_fma_f32 v52, v60, s24, -v33
	v_rndne_f32_e32 v53, v33
	v_exp_f32_e32 v59, v59
	v_cvt_i32_f32_e32 v64, v65
	v_fmac_f32_e32 v52, 0x32a5705f, v60
	v_sub_f32_e32 v33, v33, v53
	v_add_f32_e32 v33, v33, v52
	v_exp_f32_e32 v52, v33
	v_cvt_i32_f32_e32 v53, v53
	v_ldexp_f32 v32, v59, v64
	v_cmp_ngt_f32_e64 s[0:1], s7, v61
	s_waitcnt lgkmcnt(0)
	v_fmac_f32_e32 v57, v70, v30
	v_cndmask_b32_e64 v32, 0, v32, s[0:1]
	v_cmp_nlt_f32_e64 s[0:1], s15, v61
	v_fmac_f32_e32 v57, v71, v31
	v_cndmask_b32_e64 v33, v81, v32, s[0:1]
	v_ldexp_f32 v32, v52, v53
	v_cmp_ngt_f32_e64 s[0:1], s7, v60
	v_cndmask_b32_e64 v32, 0, v32, s[0:1]
	v_cmp_nlt_f32_e64 s[0:1], s15, v60
	v_pk_mul_f32 v[60:61], v[56:57], v[6:7] op_sel_hi:[0,1]
	v_pk_mul_f32 v[52:53], v[58:59], v[62:63] op_sel_hi:[0,1]
	v_mul_f32_e32 v59, 0x3fb8aa3b, v61
	v_cndmask_b32_e64 v32, v81, v32, s[0:1]
	v_fma_f32 v62, v61, s24, -v59
	v_rndne_f32_e32 v63, v59
	v_fmac_f32_e32 v62, 0x32a5705f, v61
	v_sub_f32_e32 v59, v59, v63
	v_pk_fma_f32 v[32:33], v[40:41], v[32:33], v[52:53]
	v_mul_f32_e32 v41, 0x3fb8aa3b, v60
	v_add_f32_e32 v59, v59, v62
	v_fma_f32 v52, v60, s24, -v41
	v_rndne_f32_e32 v53, v41
	v_exp_f32_e32 v59, v59
	v_cvt_i32_f32_e32 v62, v63
	v_fmac_f32_e32 v52, 0x32a5705f, v60
	v_sub_f32_e32 v41, v41, v53
	v_add_f32_e32 v41, v41, v52
	v_exp_f32_e32 v52, v41
	v_cvt_i32_f32_e32 v53, v53
	v_ldexp_f32 v40, v59, v62
	v_cmp_ngt_f32_e64 s[0:1], s7, v61
	v_cndmask_b32_e64 v40, 0, v40, s[0:1]
	v_cmp_nlt_f32_e64 s[0:1], s15, v61
	v_cndmask_b32_e64 v41, v81, v40, s[0:1]
	v_ldexp_f32 v40, v52, v53
	v_cmp_ngt_f32_e64 s[0:1], s7, v60
	v_fmac_f32_e32 v57, v72, v32
	v_cndmask_b32_e64 v40, 0, v40, s[0:1]
	v_cmp_nlt_f32_e64 s[0:1], s15, v60
	v_fmac_f32_e32 v57, v73, v33
	v_cndmask_b32_e64 v40, v81, v40, s[0:1]
	v_pk_mul_f32 v[22:23], v[58:59], v[22:23] op_sel_hi:[0,1]
	v_pk_fma_f32 v[40:41], v[54:55], v[40:41], v[22:23]
	v_pk_mul_f32 v[22:23], v[56:57], v[8:9] op_sel_hi:[0,1]
	v_mul_f32_e32 v52, 0x3fb8aa3b, v23
	v_rndne_f32_e32 v60, v52
	v_fma_f32 v59, v23, s24, -v52
	v_sub_f32_e32 v61, v52, v60
	ds_read_b128 v[52:55], v80 offset:96
	v_fmac_f32_e32 v59, 0x32a5705f, v23
	v_add_f32_e32 v59, v61, v59
	v_exp_f32_e32 v59, v59
	v_cvt_i32_f32_e32 v64, v60
	ds_read_b128 v[60:63], v80 offset:112
	s_waitcnt lgkmcnt(1)
	v_fmac_f32_e32 v57, v52, v40
	v_fmac_f32_e32 v57, v53, v41
	v_mul_f32_e32 v53, 0x3fb8aa3b, v22
	v_ldexp_f32 v52, v59, v64
	v_fma_f32 v59, v22, s24, -v53
	v_rndne_f32_e32 v64, v53
	v_fmac_f32_e32 v59, 0x32a5705f, v22
	v_sub_f32_e32 v53, v53, v64
	v_add_f32_e32 v53, v53, v59
	v_exp_f32_e32 v53, v53
	v_cvt_i32_f32_e32 v59, v64
	v_cmp_ngt_f32_e64 s[0:1], s7, v23
	v_cndmask_b32_e64 v52, 0, v52, s[0:1]
	v_cmp_nlt_f32_e64 s[0:1], s15, v23
	v_cndmask_b32_e64 v23, v81, v52, s[0:1]
	v_ldexp_f32 v52, v53, v59
	v_cmp_ngt_f32_e64 s[0:1], s7, v22
	v_cndmask_b32_e64 v52, 0, v52, s[0:1]
	v_cmp_nlt_f32_e64 s[0:1], s15, v22
	v_cndmask_b32_e64 v22, v81, v52, s[0:1]
	v_pk_mul_f32 v[52:53], v[56:57], v[2:3] op_sel_hi:[0,1]
	v_pk_mul_f32 v[24:25], v[58:59], v[24:25] op_sel_hi:[0,1]
	v_mul_f32_e32 v59, 0x3fb8aa3b, v53
	v_fma_f32 v64, v53, s24, -v59
	v_rndne_f32_e32 v65, v59
	v_fmac_f32_e32 v64, 0x32a5705f, v53
	v_sub_f32_e32 v59, v59, v65
	v_pk_fma_f32 v[42:43], v[42:43], v[22:23], v[24:25]
	v_mul_f32_e32 v23, 0x3fb8aa3b, v52
	v_add_f32_e32 v59, v59, v64
	v_fma_f32 v24, v52, s24, -v23
	v_rndne_f32_e32 v25, v23
	v_exp_f32_e32 v59, v59
	v_cvt_i32_f32_e32 v64, v65
	v_fmac_f32_e32 v24, 0x32a5705f, v52
	v_sub_f32_e32 v23, v23, v25
	v_add_f32_e32 v23, v23, v24
	v_exp_f32_e32 v24, v23
	v_cvt_i32_f32_e32 v25, v25
	v_fmac_f32_e32 v57, v54, v42
	v_ldexp_f32 v22, v59, v64
	v_cmp_ngt_f32_e64 s[0:1], s7, v53
	v_fmac_f32_e32 v57, v55, v43
	v_cndmask_b32_e64 v22, 0, v22, s[0:1]
	v_cmp_nlt_f32_e64 s[0:1], s15, v53
	v_cndmask_b32_e64 v23, v81, v22, s[0:1]
	v_ldexp_f32 v22, v24, v25
	v_cmp_ngt_f32_e64 s[0:1], s7, v52
	v_pk_mul_f32 v[24:25], v[56:57], v[4:5] op_sel_hi:[0,1]
	v_cndmask_b32_e64 v22, 0, v22, s[0:1]
	v_cmp_nlt_f32_e64 s[0:1], s15, v52
	v_mul_f32_e32 v52, 0x3fb8aa3b, v25
	v_cndmask_b32_e64 v22, v81, v22, s[0:1]
	v_pk_mul_f32 v[18:19], v[58:59], v[18:19] op_sel_hi:[0,1]
	v_fma_f32 v53, v25, s24, -v52
	v_rndne_f32_e32 v54, v52
	v_fmac_f32_e32 v53, 0x32a5705f, v25
	v_sub_f32_e32 v52, v52, v54
	v_pk_fma_f32 v[44:45], v[44:45], v[22:23], v[18:19]
	v_mul_f32_e32 v19, 0x3fb8aa3b, v24
	v_add_f32_e32 v52, v52, v53
	v_fma_f32 v22, v24, s24, -v19
	v_rndne_f32_e32 v23, v19
	v_exp_f32_e32 v52, v52
	v_cvt_i32_f32_e32 v53, v54
	v_fmac_f32_e32 v22, 0x32a5705f, v24
	v_sub_f32_e32 v19, v19, v23
	v_add_f32_e32 v19, v19, v22
	v_exp_f32_e32 v22, v19
	v_cvt_i32_f32_e32 v23, v23
	v_ldexp_f32 v18, v52, v53
	v_cmp_ngt_f32_e64 s[0:1], s7, v25
	v_cndmask_b32_e64 v18, 0, v18, s[0:1]
	v_cmp_nlt_f32_e64 s[0:1], s15, v25
	v_cndmask_b32_e64 v19, v81, v18, s[0:1]
	v_ldexp_f32 v18, v22, v23
	v_cmp_ngt_f32_e64 s[0:1], s7, v24
	v_cndmask_b32_e64 v18, 0, v18, s[0:1]
	v_cmp_nlt_f32_e64 s[0:1], s15, v24
	s_waitcnt lgkmcnt(0)
	v_fmac_f32_e32 v57, v60, v44
	v_cndmask_b32_e64 v18, v81, v18, s[0:1]
	v_pk_mul_f32 v[20:21], v[58:59], v[20:21] op_sel_hi:[0,1]
	v_fmac_f32_e32 v57, v61, v45
	v_pk_fma_f32 v[46:47], v[46:47], v[18:19], v[20:21]
	s_lshl_b64 s[4:5], s[20:21], 2
	v_fmac_f32_e32 v57, v62, v46
	v_mov_b32_e32 v19, s5
	v_add_co_u32_e64 v18, s[0:1], s4, v38
	v_fmac_f32_e32 v57, v63, v47
	v_addc_co_u32_e64 v19, s[0:1], v39, v19, s[0:1]
	global_store_dword v[18:19], v57, off
	s_barrier
	s_and_saveexec_b64 s[2:3], vcc
	s_cbranch_execz .LBB8_10
; %bb.9:
	s_lshl_b64 s[0:1], s[8:9], 3
	v_mov_b32_e32 v19, s1
	v_add_co_u32_e64 v18, s[0:1], s0, v0
	v_addc_co_u32_e64 v19, s[0:1], v1, v19, s[0:1]
	s_lshl_b64 s[0:1], s[10:11], 3
	global_load_dword v20, v[18:19], off
	v_mov_b32_e32 v19, s1
	v_add_co_u32_e64 v18, s[0:1], s0, v36
	v_addc_co_u32_e64 v19, s[0:1], v37, v19, s[0:1]
	global_load_dword v18, v[18:19], off
	s_waitcnt vmcnt(1)
	ds_write_b32 v68, v20
	s_waitcnt vmcnt(0)
	ds_write_b32 v69, v18
.LBB8_10:
	s_or_b64 exec, exec, s[2:3]
	v_mov_b32_e32 v18, s17
	v_add_co_u32_e64 v48, s[0:1], s16, v48
	v_addc_co_u32_e64 v49, s[0:1], v49, v18, s[0:1]
	s_waitcnt lgkmcnt(0)
	s_barrier
	global_load_dword v52, v[48:49], off
	s_mov_b32 s0, 0x41a00000
	s_mov_b32 s27, s14
	s_waitcnt vmcnt(0)
	v_cmp_ge_f32_e64 s[0:1], s0, v52
	s_and_saveexec_b64 s[14:15], s[0:1]
	s_cbranch_execz .LBB8_12
; %bb.11:
	v_mul_f32_e32 v18, 0x3fb8aa3b, v52
	s_mov_b32 s0, 0x3fb8aa3b
	v_rndne_f32_e32 v19, v18
	v_sub_f32_e32 v20, v18, v19
	v_fma_f32 v18, v52, s0, -v18
	v_fmac_f32_e32 v18, 0x32a5705f, v52
	v_add_f32_e32 v18, v20, v18
	v_exp_f32_e32 v18, v18
	v_cvt_i32_f32_e32 v19, v19
	s_mov_b32 s0, 0xc2ce8ed0
	v_cmp_ngt_f32_e64 s[0:1], s0, v52
	s_mov_b32 s2, 0x7f800000
	v_ldexp_f32 v18, v18, v19
	v_cndmask_b32_e64 v18, 0, v18, s[0:1]
	s_mov_b32 s0, 0x42b17218
	v_mov_b32_e32 v19, 0x7f800000
	v_cmp_nlt_f32_e64 s[0:1], s0, v52
	v_cndmask_b32_e64 v60, v19, v18, s[0:1]
	v_add_f32_e32 v20, 1.0, v60
	v_add_f32_e32 v18, -1.0, v20
	v_sub_f32_e32 v19, v18, v20
	v_add_f32_e32 v19, 1.0, v19
	v_sub_f32_e32 v18, v60, v18
	v_add_f32_e32 v21, v18, v19
	v_frexp_mant_f32_e32 v22, v20
	s_mov_b32 s0, 0x3f2aaaab
	v_cvt_f64_f32_e32 v[18:19], v20
	v_frexp_exp_i32_f64_e32 v18, v[18:19]
	v_cmp_gt_f32_e64 s[0:1], s0, v22
	v_subbrev_co_u32_e64 v52, s[0:1], 0, v18, s[0:1]
	v_sub_u32_e32 v18, 0, v52
	v_ldexp_f32 v19, v20, v18
	v_add_f32_e32 v20, -1.0, v19
	v_add_f32_e32 v22, 1.0, v19
	v_ldexp_f32 v18, v21, v18
	v_add_f32_e32 v21, 1.0, v20
	v_add_f32_e32 v23, -1.0, v22
	v_sub_f32_e32 v21, v19, v21
	v_sub_f32_e32 v19, v19, v23
	v_add_f32_e32 v21, v18, v21
	v_add_f32_e32 v18, v18, v19
	v_add_f32_e32 v53, v22, v18
	v_rcp_f32_e32 v55, v53
	v_sub_f32_e32 v19, v22, v53
	v_add_f32_e32 v54, v18, v19
	v_add_f32_e32 v19, v20, v21
	v_mul_f32_e32 v57, v19, v55
	v_sub_f32_e32 v18, v20, v19
	v_mul_f32_e32 v20, v53, v57
	v_fma_f32 v22, v57, v53, -v20
	v_fmac_f32_e32 v22, v57, v54
	v_add_f32_e32 v56, v21, v18
	v_add_f32_e32 v18, v20, v22
	v_sub_f32_e32 v21, v19, v18
	v_pk_add_f32 v[24:25], v[18:19], v[20:21] neg_lo:[0,1] neg_hi:[0,1]
	v_mov_b32_e32 v23, v18
	v_pk_add_f32 v[18:19], v[24:25], v[22:23] neg_lo:[0,1] neg_hi:[0,1]
	v_add_f32_e32 v19, v56, v19
	v_add_f32_e32 v18, v18, v19
	;; [unrolled: 1-line block ×3, first 2 shown]
	v_mul_f32_e32 v56, v55, v19
	v_mul_f32_e32 v20, v53, v56
	v_fma_f32 v22, v56, v53, -v20
	v_fmac_f32_e32 v22, v56, v54
	v_sub_f32_e32 v21, v21, v19
	v_add_f32_e32 v53, v18, v21
	v_add_f32_e32 v18, v20, v22
	v_sub_f32_e32 v21, v19, v18
	v_pk_add_f32 v[24:25], v[18:19], v[20:21] neg_lo:[0,1] neg_hi:[0,1]
	v_mov_b32_e32 v23, v18
	v_pk_add_f32 v[18:19], v[24:25], v[22:23] neg_lo:[0,1] neg_hi:[0,1]
	v_add_f32_e32 v19, v53, v19
	v_add_f32_e32 v18, v18, v19
	;; [unrolled: 1-line block ×4, first 2 shown]
	v_sub_f32_e32 v19, v21, v57
	v_mul_f32_e32 v18, v55, v18
	v_sub_f32_e32 v19, v56, v19
	v_add_f32_e32 v18, v19, v18
	v_add_f32_e32 v22, v21, v18
	v_mul_f32_e32 v24, v22, v22
	v_mov_b32_e32 v20, 0x3ecc95a3
	v_fmac_f32_e32 v20, 0x3e9b6dac, v24
	v_mov_b32_e32 v19, 0x3f2aaada
	v_fmac_f32_e32 v19, v24, v20
	v_cvt_f32_i32_e32 v20, v52
	v_sub_f32_e32 v21, v22, v21
	v_sub_f32_e32 v18, v18, v21
	v_ldexp_f32 v25, v18, 1
	v_mul_f32_e32 v21, v22, v24
	v_mov_b32_e32 v18, 0x3f317218
	s_mov_b32 s0, 0x3f317218
	v_pk_mul_f32 v[18:19], v[20:21], v[18:19]
	v_ldexp_f32 v23, v22, 1
	v_fma_f32 v22, v20, s0, -v18
	v_fmac_f32_e32 v22, 0xb102e308, v20
	v_pk_add_f32 v[20:21], v[18:19], v[22:23]
	v_sub_f32_e32 v23, v21, v23
	v_sub_f32_e32 v23, v19, v23
	v_add_f32_e32 v25, v25, v23
	v_mov_b32_e32 v24, v18
	v_pk_add_f32 v[18:19], v[20:21], v[18:19] neg_lo:[0,1] neg_hi:[0,1]
	v_pk_add_f32 v[52:53], v[20:21], v[24:25]
	v_mov_b32_e32 v19, v53
	v_mov_b32_e32 v23, v20
	v_pk_add_f32 v[54:55], v[22:23], v[18:19] neg_lo:[0,1] neg_hi:[0,1]
	v_pk_add_f32 v[18:19], v[22:23], v[18:19]
	v_mov_b32_e32 v22, v19
	v_pk_add_f32 v[56:57], v[22:23], v[20:21] neg_lo:[0,1] neg_hi:[0,1]
	v_mov_b32_e32 v23, v56
	v_pk_add_f32 v[58:59], v[52:53], v[22:23] neg_lo:[0,1] neg_hi:[0,1]
	v_mov_b32_e32 v18, v53
	v_mov_b32_e32 v52, v21
	;; [unrolled: 1-line block ×4, first 2 shown]
	v_pk_add_f32 v[18:19], v[18:19], v[52:53] neg_lo:[0,1] neg_hi:[0,1]
	v_mov_b32_e32 v24, v25
	v_mov_b32_e32 v25, v20
	v_pk_add_f32 v[18:19], v[24:25], v[18:19] neg_lo:[0,1] neg_hi:[0,1]
	v_mov_b32_e32 v58, v54
	v_pk_add_f32 v[20:21], v[58:59], v[18:19]
	v_mov_b32_e32 v24, v21
	v_pk_add_f32 v[24:25], v[20:21], v[24:25]
	v_pk_add_f32 v[22:23], v[22:23], v[24:25]
	v_mov_b32_e32 v21, v22
	v_pk_add_f32 v[52:53], v[20:21], v[54:55] neg_lo:[0,1] neg_hi:[0,1]
	v_mov_b32_e32 v19, v24
	v_sub_f32_e32 v20, v20, v52
	v_pk_add_f32 v[18:19], v[18:19], v[52:53] neg_lo:[0,1] neg_hi:[0,1]
	v_sub_f32_e32 v20, v54, v20
	v_add_f32_e32 v18, v18, v20
	v_cmp_eq_f32_e64 s[0:1], s2, v60
	s_mov_b32 s2, 0x33800000
	v_add_f32_e32 v18, v18, v19
	v_cmp_gt_f32_e64 s[2:3], s2, v60
	v_add_f32_e32 v18, v22, v18
	s_or_b64 s[0:1], s[2:3], s[0:1]
	v_cndmask_b32_e64 v52, v18, v60, s[0:1]
.LBB8_12:
	s_or_b64 exec, exec, s[14:15]
	v_mov_b32_e32 v18, s19
	v_add_co_u32_e64 v56, s[0:1], s18, v50
	v_addc_co_u32_e64 v57, s[0:1], v51, v18, s[0:1]
	global_load_dword v53, v[56:57], off
	s_mov_b32 s7, 0x3fb8aa3b
	s_mov_b32 s2, 0xc2ce8ed0
	;; [unrolled: 1-line block ×3, first 2 shown]
	v_mov_b32_e32 v80, 0
	v_mov_b32_e32 v55, 0x7f800000
	ds_read_b128 v[58:61], v80
	ds_read_b128 v[62:65], v80 offset:16
	ds_read_b128 v[22:25], v80 offset:32
	;; [unrolled: 1-line block ×5, first 2 shown]
	s_waitcnt vmcnt(0)
	v_pk_mul_f32 v[50:51], v[52:53], v[14:15] op_sel_hi:[0,1]
	v_mul_f32_e32 v54, 0x3fb8aa3b, v51
	v_pk_mul_f32 v[66:67], v[52:53], v[16:17] op_sel_hi:[0,1]
	v_mul_f32_e32 v81, 0x3fb8aa3b, v50
	v_fma_f32 v85, v51, s7, -v54
	v_rndne_f32_e32 v89, v54
	v_mul_f32_e32 v82, 0x3fb8aa3b, v67
	v_fma_f32 v86, v50, s7, -v81
	v_rndne_f32_e32 v90, v81
	v_fmac_f32_e32 v85, 0x32a5705f, v51
	v_sub_f32_e32 v54, v54, v89
	v_mul_f32_e32 v83, 0x3fb8aa3b, v66
	v_fma_f32 v87, v67, s7, -v82
	v_rndne_f32_e32 v91, v82
	v_fmac_f32_e32 v86, 0x32a5705f, v50
	v_sub_f32_e32 v81, v81, v90
	v_add_f32_e32 v54, v54, v85
	v_fma_f32 v88, v66, s7, -v83
	v_rndne_f32_e32 v92, v83
	v_fmac_f32_e32 v87, 0x32a5705f, v67
	v_sub_f32_e32 v82, v82, v91
	v_cvt_i32_f32_e32 v89, v89
	v_add_f32_e32 v81, v81, v86
	v_exp_f32_e32 v54, v54
	v_fmac_f32_e32 v88, 0x32a5705f, v66
	v_cvt_i32_f32_e32 v90, v90
	v_sub_f32_e32 v83, v83, v92
	v_add_f32_e32 v82, v82, v87
	v_exp_f32_e32 v81, v81
	v_cvt_i32_f32_e32 v91, v91
	v_add_f32_e32 v83, v83, v88
	v_exp_f32_e32 v82, v82
	v_cvt_i32_f32_e32 v92, v92
	v_exp_f32_e32 v83, v83
	v_ldexp_f32 v54, v54, v89
	v_cmp_ngt_f32_e64 s[0:1], s2, v51
	v_ldexp_f32 v81, v81, v90
	v_cndmask_b32_e64 v54, 0, v54, s[0:1]
	v_cmp_ngt_f32_e64 s[0:1], s2, v50
	v_ldexp_f32 v82, v82, v91
	v_cndmask_b32_e64 v81, 0, v81, s[0:1]
	;; [unrolled: 3-line block ×3, first 2 shown]
	v_cmp_ngt_f32_e64 s[0:1], s2, v66
	v_cndmask_b32_e64 v83, 0, v83, s[0:1]
	v_cmp_nlt_f32_e64 s[0:1], s3, v51
	v_pk_mul_f32 v[78:79], v[52:53], v[10:11] op_sel_hi:[0,1]
	v_cndmask_b32_e64 v51, v55, v54, s[0:1]
	v_cmp_nlt_f32_e64 s[0:1], s3, v50
	v_mul_f32_e32 v84, 0x3fb8aa3b, v79
	v_cndmask_b32_e64 v50, v55, v81, s[0:1]
	v_cmp_nlt_f32_e64 s[0:1], s3, v67
	v_mul_f32_e32 v54, v52, v53
	v_fma_f32 v93, v79, s7, -v84
	v_rndne_f32_e32 v94, v84
	v_cndmask_b32_e64 v67, v55, v82, s[0:1]
	v_cmp_nlt_f32_e64 s[0:1], s3, v66
	s_waitcnt lgkmcnt(5)
	v_pk_mul_f32 v[58:59], v[54:55], v[58:59] op_sel_hi:[0,1]
	v_fmac_f32_e32 v93, 0x32a5705f, v79
	v_sub_f32_e32 v84, v84, v94
	v_cndmask_b32_e64 v66, v55, v83, s[0:1]
	v_pk_mul_f32 v[60:61], v[54:55], v[60:61] op_sel_hi:[0,1]
	v_pk_fma_f32 v[58:59], v[26:27], v[50:51], v[58:59]
	v_mul_f32_e32 v27, 0x3fb8aa3b, v78
	v_add_f32_e32 v84, v84, v93
	v_pk_fma_f32 v[60:61], v[28:29], v[66:67], v[60:61]
	v_fma_f32 v28, v78, s7, -v27
	v_rndne_f32_e32 v29, v27
	v_cvt_i32_f32_e32 v94, v94
	v_exp_f32_e32 v84, v84
	v_fmac_f32_e32 v28, 0x32a5705f, v78
	v_sub_f32_e32 v27, v27, v29
	v_add_f32_e32 v27, v27, v28
	v_exp_f32_e32 v28, v27
	v_cvt_i32_f32_e32 v29, v29
	v_ldexp_f32 v26, v84, v94
	v_cmp_ngt_f32_e64 s[0:1], s2, v79
	v_cndmask_b32_e64 v26, 0, v26, s[0:1]
	v_cmp_nlt_f32_e64 s[0:1], s3, v79
	v_pk_mul_f32 v[50:51], v[52:53], v[12:13] op_sel_hi:[0,1]
	v_cndmask_b32_e64 v27, v55, v26, s[0:1]
	v_ldexp_f32 v26, v28, v29
	v_cmp_ngt_f32_e64 s[0:1], s2, v78
	v_mul_f32_e32 v53, 0x3fb8aa3b, v51
	v_cndmask_b32_e64 v26, 0, v26, s[0:1]
	v_cmp_nlt_f32_e64 s[0:1], s3, v78
	s_waitcnt lgkmcnt(4)
	v_pk_mul_f32 v[28:29], v[54:55], v[62:63] op_sel_hi:[0,1]
	v_fma_f32 v62, v51, s7, -v53
	v_rndne_f32_e32 v63, v53
	v_cndmask_b32_e64 v26, v55, v26, s[0:1]
	v_fmac_f32_e32 v62, 0x32a5705f, v51
	v_sub_f32_e32 v53, v53, v63
	v_add_f32_e32 v53, v53, v62
	v_cvt_i32_f32_e32 v66, v63
	v_pk_fma_f32 v[62:63], v[30:31], v[26:27], v[28:29]
	v_mul_f32_e32 v27, 0x3fb8aa3b, v50
	v_fma_f32 v28, v50, s7, -v27
	v_rndne_f32_e32 v29, v27
	v_exp_f32_e32 v53, v53
	v_fmac_f32_e32 v28, 0x32a5705f, v50
	v_sub_f32_e32 v27, v27, v29
	v_add_f32_e32 v27, v27, v28
	v_exp_f32_e32 v28, v27
	v_cvt_i32_f32_e32 v29, v29
	v_ldexp_f32 v26, v53, v66
	v_cmp_ngt_f32_e64 s[0:1], s2, v51
	v_cndmask_b32_e64 v26, 0, v26, s[0:1]
	v_cmp_nlt_f32_e64 s[0:1], s3, v51
	v_cndmask_b32_e64 v27, v55, v26, s[0:1]
	v_ldexp_f32 v26, v28, v29
	v_cmp_ngt_f32_e64 s[0:1], s2, v50
	v_pk_mul_f32 v[30:31], v[52:53], v[6:7] op_sel_hi:[0,1]
	v_cndmask_b32_e64 v26, 0, v26, s[0:1]
	v_cmp_nlt_f32_e64 s[0:1], s3, v50
	v_mul_f32_e32 v50, 0x3fb8aa3b, v31
	v_cndmask_b32_e64 v26, v55, v26, s[0:1]
	v_pk_mul_f32 v[28:29], v[54:55], v[64:65] op_sel_hi:[0,1]
	v_fma_f32 v51, v31, s7, -v50
	v_rndne_f32_e32 v53, v50
	v_fmac_f32_e32 v51, 0x32a5705f, v31
	v_sub_f32_e32 v50, v50, v53
	v_pk_fma_f32 v[64:65], v[32:33], v[26:27], v[28:29]
	v_mul_f32_e32 v27, 0x3fb8aa3b, v30
	v_add_f32_e32 v50, v50, v51
	v_fma_f32 v28, v30, s7, -v27
	v_rndne_f32_e32 v29, v27
	v_exp_f32_e32 v50, v50
	v_cvt_i32_f32_e32 v51, v53
	v_fmac_f32_e32 v28, 0x32a5705f, v30
	v_sub_f32_e32 v27, v27, v29
	v_add_f32_e32 v27, v27, v28
	v_exp_f32_e32 v28, v27
	v_cvt_i32_f32_e32 v29, v29
	v_ldexp_f32 v26, v50, v51
	v_cmp_ngt_f32_e64 s[0:1], s2, v31
	v_cndmask_b32_e64 v26, 0, v26, s[0:1]
	v_cmp_nlt_f32_e64 s[0:1], s3, v31
	v_cndmask_b32_e64 v27, v55, v26, s[0:1]
	v_ldexp_f32 v26, v28, v29
	v_cmp_ngt_f32_e64 s[0:1], s2, v30
	v_cndmask_b32_e64 v26, 0, v26, s[0:1]
	v_cmp_nlt_f32_e64 s[0:1], s3, v30
	v_cndmask_b32_e64 v26, v55, v26, s[0:1]
	s_waitcnt lgkmcnt(3)
	v_pk_mul_f32 v[22:23], v[54:55], v[22:23] op_sel_hi:[0,1]
	s_waitcnt lgkmcnt(1)
	v_fma_f32 v70, v70, v58, 0
	v_pk_fma_f32 v[66:67], v[40:41], v[26:27], v[22:23]
	v_pk_mul_f32 v[22:23], v[52:53], v[8:9] op_sel_hi:[0,1]
	v_fmac_f32_e32 v70, v71, v59
	v_mul_f32_e32 v26, 0x3fb8aa3b, v23
	v_fmac_f32_e32 v70, v72, v60
	v_rndne_f32_e32 v31, v26
	v_fmac_f32_e32 v70, v73, v61
	v_fma_f32 v30, v23, s7, -v26
	v_sub_f32_e32 v32, v26, v31
	ds_read_b128 v[26:29], v80 offset:96
	s_waitcnt lgkmcnt(1)
	v_fmac_f32_e32 v70, v74, v62
	v_fmac_f32_e32 v30, 0x32a5705f, v23
	;; [unrolled: 1-line block ×3, first 2 shown]
	v_add_f32_e32 v30, v32, v30
	v_fmac_f32_e32 v70, v76, v64
	v_exp_f32_e32 v40, v30
	v_cvt_i32_f32_e32 v41, v31
	ds_read_b128 v[30:33], v80 offset:112
	v_fmac_f32_e32 v70, v77, v65
	s_waitcnt lgkmcnt(1)
	v_fmac_f32_e32 v70, v26, v66
	v_fmac_f32_e32 v70, v27, v67
	v_mul_f32_e32 v27, 0x3fb8aa3b, v22
	v_ldexp_f32 v26, v40, v41
	v_fma_f32 v40, v22, s7, -v27
	v_rndne_f32_e32 v41, v27
	v_fmac_f32_e32 v40, 0x32a5705f, v22
	v_sub_f32_e32 v27, v27, v41
	v_add_f32_e32 v27, v27, v40
	v_exp_f32_e32 v27, v27
	v_cvt_i32_f32_e32 v40, v41
	v_cmp_ngt_f32_e64 s[0:1], s2, v23
	v_cndmask_b32_e64 v26, 0, v26, s[0:1]
	v_cmp_nlt_f32_e64 s[0:1], s3, v23
	v_cndmask_b32_e64 v23, v55, v26, s[0:1]
	v_ldexp_f32 v26, v27, v40
	v_cmp_ngt_f32_e64 s[0:1], s2, v22
	v_cndmask_b32_e64 v26, 0, v26, s[0:1]
	v_cmp_nlt_f32_e64 s[0:1], s3, v22
	v_cndmask_b32_e64 v22, v55, v26, s[0:1]
	v_pk_mul_f32 v[26:27], v[52:53], v[2:3] op_sel_hi:[0,1]
	v_mul_f32_e32 v40, 0x3fb8aa3b, v27
	v_fma_f32 v41, v27, s7, -v40
	v_rndne_f32_e32 v50, v40
	v_pk_mul_f32 v[24:25], v[54:55], v[24:25] op_sel_hi:[0,1]
	v_fmac_f32_e32 v41, 0x32a5705f, v27
	v_sub_f32_e32 v40, v40, v50
	v_add_f32_e32 v40, v40, v41
	v_cvt_i32_f32_e32 v41, v50
	v_pk_fma_f32 v[50:51], v[42:43], v[22:23], v[24:25]
	v_mul_f32_e32 v23, 0x3fb8aa3b, v26
	v_fma_f32 v24, v26, s7, -v23
	v_rndne_f32_e32 v25, v23
	v_exp_f32_e32 v40, v40
	v_fmac_f32_e32 v24, 0x32a5705f, v26
	v_sub_f32_e32 v23, v23, v25
	v_add_f32_e32 v23, v23, v24
	v_exp_f32_e32 v24, v23
	v_cvt_i32_f32_e32 v25, v25
	v_ldexp_f32 v22, v40, v41
	v_cmp_ngt_f32_e64 s[0:1], s2, v27
	v_cndmask_b32_e64 v22, 0, v22, s[0:1]
	v_cmp_nlt_f32_e64 s[0:1], s3, v27
	v_cndmask_b32_e64 v23, v55, v22, s[0:1]
	v_ldexp_f32 v22, v24, v25
	v_cmp_ngt_f32_e64 s[0:1], s2, v26
	v_pk_mul_f32 v[24:25], v[52:53], v[4:5] op_sel_hi:[0,1]
	v_cndmask_b32_e64 v22, 0, v22, s[0:1]
	v_cmp_nlt_f32_e64 s[0:1], s3, v26
	v_mul_f32_e32 v26, 0x3fb8aa3b, v25
	v_fmac_f32_e32 v70, v28, v50
	v_cndmask_b32_e64 v22, v55, v22, s[0:1]
	v_pk_mul_f32 v[18:19], v[54:55], v[18:19] op_sel_hi:[0,1]
	v_fma_f32 v27, v25, s7, -v26
	v_rndne_f32_e32 v28, v26
	v_fmac_f32_e32 v27, 0x32a5705f, v25
	v_sub_f32_e32 v26, v26, v28
	v_pk_fma_f32 v[52:53], v[44:45], v[22:23], v[18:19]
	v_mul_f32_e32 v19, 0x3fb8aa3b, v24
	v_add_f32_e32 v26, v26, v27
	v_fma_f32 v22, v24, s7, -v19
	v_rndne_f32_e32 v23, v19
	v_exp_f32_e32 v26, v26
	v_cvt_i32_f32_e32 v27, v28
	v_fmac_f32_e32 v22, 0x32a5705f, v24
	v_sub_f32_e32 v19, v19, v23
	v_add_f32_e32 v19, v19, v22
	v_exp_f32_e32 v22, v19
	v_cvt_i32_f32_e32 v23, v23
	v_ldexp_f32 v18, v26, v27
	v_cmp_ngt_f32_e64 s[0:1], s2, v25
	v_cndmask_b32_e64 v18, 0, v18, s[0:1]
	v_cmp_nlt_f32_e64 s[0:1], s3, v25
	v_cndmask_b32_e64 v19, v55, v18, s[0:1]
	v_ldexp_f32 v18, v22, v23
	v_cmp_ngt_f32_e64 s[0:1], s2, v24
	v_fmac_f32_e32 v70, v29, v51
	v_cndmask_b32_e64 v18, 0, v18, s[0:1]
	v_cmp_nlt_f32_e64 s[0:1], s3, v24
	s_waitcnt lgkmcnt(0)
	v_fmac_f32_e32 v70, v30, v52
	v_cndmask_b32_e64 v18, v55, v18, s[0:1]
	v_pk_mul_f32 v[20:21], v[54:55], v[20:21] op_sel_hi:[0,1]
	v_fmac_f32_e32 v70, v31, v53
	v_pk_fma_f32 v[54:55], v[46:47], v[18:19], v[20:21]
	s_ashr_i64 s[0:1], s[26:27], 29
	v_fmac_f32_e32 v70, v32, v54
	v_mov_b32_e32 v19, s1
	v_add_co_u32_e64 v18, s[0:1], s0, v38
	v_fmac_f32_e32 v70, v33, v55
	v_addc_co_u32_e64 v19, s[0:1], v39, v19, s[0:1]
	global_store_dword v[18:19], v70, off
	s_barrier
	s_and_saveexec_b64 s[0:1], vcc
	s_cbranch_execz .LBB8_14
; %bb.13:
	v_mad_i64_i32 v[18:19], s[2:3], s8, 12, v[0:1]
	global_load_dword v20, v[18:19], off
	v_mad_i64_i32 v[18:19], s[2:3], s10, 12, v[36:37]
	global_load_dword v18, v[18:19], off
	s_waitcnt vmcnt(1)
	ds_write_b32 v68, v20
	s_waitcnt vmcnt(0)
	ds_write_b32 v69, v18
.LBB8_14:
	s_or_b64 exec, exec, s[0:1]
	v_mov_b32_e32 v18, s17
	v_add_co_u32_e64 v26, s[0:1], s16, v48
	v_addc_co_u32_e64 v27, s[0:1], v49, v18, s[0:1]
	s_waitcnt lgkmcnt(0)
	s_barrier
	global_load_dword v48, v[26:27], off
	s_mov_b32 s0, 0x41a00000
	s_waitcnt vmcnt(0)
	v_cmp_ge_f32_e64 s[0:1], s0, v48
	s_and_saveexec_b64 s[14:15], s[0:1]
	s_cbranch_execz .LBB8_16
; %bb.15:
	v_mul_f32_e32 v18, 0x3fb8aa3b, v48
	s_mov_b32 s0, 0x3fb8aa3b
	v_rndne_f32_e32 v19, v18
	v_sub_f32_e32 v20, v18, v19
	v_fma_f32 v18, v48, s0, -v18
	v_fmac_f32_e32 v18, 0x32a5705f, v48
	v_add_f32_e32 v18, v20, v18
	v_exp_f32_e32 v18, v18
	v_cvt_i32_f32_e32 v19, v19
	s_mov_b32 s0, 0xc2ce8ed0
	v_cmp_ngt_f32_e64 s[0:1], s0, v48
	s_mov_b32 s2, 0x7f800000
	v_ldexp_f32 v18, v18, v19
	v_cndmask_b32_e64 v18, 0, v18, s[0:1]
	s_mov_b32 s0, 0x42b17218
	v_mov_b32_e32 v19, 0x7f800000
	v_cmp_nlt_f32_e64 s[0:1], s0, v48
	v_cndmask_b32_e64 v42, v19, v18, s[0:1]
	v_add_f32_e32 v20, 1.0, v42
	v_add_f32_e32 v18, -1.0, v20
	v_sub_f32_e32 v19, v18, v20
	v_add_f32_e32 v19, 1.0, v19
	v_sub_f32_e32 v18, v42, v18
	v_add_f32_e32 v21, v18, v19
	v_frexp_mant_f32_e32 v22, v20
	s_mov_b32 s0, 0x3f2aaaab
	v_cvt_f64_f32_e32 v[18:19], v20
	v_frexp_exp_i32_f64_e32 v18, v[18:19]
	v_cmp_gt_f32_e64 s[0:1], s0, v22
	v_subbrev_co_u32_e64 v28, s[0:1], 0, v18, s[0:1]
	v_sub_u32_e32 v18, 0, v28
	v_ldexp_f32 v19, v20, v18
	v_add_f32_e32 v20, -1.0, v19
	v_add_f32_e32 v22, 1.0, v19
	v_ldexp_f32 v18, v21, v18
	v_add_f32_e32 v21, 1.0, v20
	v_add_f32_e32 v23, -1.0, v22
	v_sub_f32_e32 v21, v19, v21
	v_sub_f32_e32 v19, v19, v23
	v_add_f32_e32 v21, v18, v21
	v_add_f32_e32 v18, v18, v19
	;; [unrolled: 1-line block ×3, first 2 shown]
	v_rcp_f32_e32 v31, v29
	v_sub_f32_e32 v19, v22, v29
	v_add_f32_e32 v30, v18, v19
	v_add_f32_e32 v19, v20, v21
	v_mul_f32_e32 v33, v19, v31
	v_sub_f32_e32 v18, v20, v19
	v_mul_f32_e32 v20, v29, v33
	v_fma_f32 v22, v33, v29, -v20
	v_fmac_f32_e32 v22, v33, v30
	v_add_f32_e32 v32, v21, v18
	v_add_f32_e32 v18, v20, v22
	v_sub_f32_e32 v21, v19, v18
	v_pk_add_f32 v[24:25], v[18:19], v[20:21] neg_lo:[0,1] neg_hi:[0,1]
	v_mov_b32_e32 v23, v18
	v_pk_add_f32 v[18:19], v[24:25], v[22:23] neg_lo:[0,1] neg_hi:[0,1]
	v_add_f32_e32 v19, v32, v19
	v_add_f32_e32 v18, v18, v19
	;; [unrolled: 1-line block ×3, first 2 shown]
	v_mul_f32_e32 v32, v31, v19
	v_mul_f32_e32 v20, v29, v32
	v_fma_f32 v22, v32, v29, -v20
	v_fmac_f32_e32 v22, v32, v30
	v_sub_f32_e32 v21, v21, v19
	v_add_f32_e32 v29, v18, v21
	v_add_f32_e32 v18, v20, v22
	v_sub_f32_e32 v21, v19, v18
	v_pk_add_f32 v[24:25], v[18:19], v[20:21] neg_lo:[0,1] neg_hi:[0,1]
	v_mov_b32_e32 v23, v18
	v_pk_add_f32 v[18:19], v[24:25], v[22:23] neg_lo:[0,1] neg_hi:[0,1]
	v_add_f32_e32 v19, v29, v19
	v_add_f32_e32 v18, v18, v19
	;; [unrolled: 1-line block ×4, first 2 shown]
	v_sub_f32_e32 v19, v21, v33
	v_mul_f32_e32 v18, v31, v18
	v_sub_f32_e32 v19, v32, v19
	v_add_f32_e32 v18, v19, v18
	v_add_f32_e32 v22, v21, v18
	v_mul_f32_e32 v24, v22, v22
	v_mov_b32_e32 v20, 0x3ecc95a3
	v_fmac_f32_e32 v20, 0x3e9b6dac, v24
	v_mov_b32_e32 v19, 0x3f2aaada
	v_fmac_f32_e32 v19, v24, v20
	v_cvt_f32_i32_e32 v20, v28
	v_sub_f32_e32 v21, v22, v21
	v_sub_f32_e32 v18, v18, v21
	v_ldexp_f32 v25, v18, 1
	v_mul_f32_e32 v21, v22, v24
	v_mov_b32_e32 v18, 0x3f317218
	s_mov_b32 s0, 0x3f317218
	v_pk_mul_f32 v[18:19], v[20:21], v[18:19]
	v_ldexp_f32 v23, v22, 1
	v_fma_f32 v22, v20, s0, -v18
	v_fmac_f32_e32 v22, 0xb102e308, v20
	v_pk_add_f32 v[20:21], v[18:19], v[22:23]
	v_sub_f32_e32 v23, v21, v23
	v_sub_f32_e32 v23, v19, v23
	v_add_f32_e32 v25, v25, v23
	v_mov_b32_e32 v24, v18
	v_pk_add_f32 v[18:19], v[20:21], v[18:19] neg_lo:[0,1] neg_hi:[0,1]
	v_pk_add_f32 v[28:29], v[20:21], v[24:25]
	v_mov_b32_e32 v19, v29
	v_mov_b32_e32 v23, v20
	v_pk_add_f32 v[30:31], v[22:23], v[18:19] neg_lo:[0,1] neg_hi:[0,1]
	v_pk_add_f32 v[18:19], v[22:23], v[18:19]
	v_mov_b32_e32 v22, v19
	v_pk_add_f32 v[32:33], v[22:23], v[20:21] neg_lo:[0,1] neg_hi:[0,1]
	v_mov_b32_e32 v23, v32
	v_pk_add_f32 v[40:41], v[28:29], v[22:23] neg_lo:[0,1] neg_hi:[0,1]
	v_mov_b32_e32 v18, v29
	v_mov_b32_e32 v28, v21
	;; [unrolled: 1-line block ×4, first 2 shown]
	v_pk_add_f32 v[18:19], v[18:19], v[28:29] neg_lo:[0,1] neg_hi:[0,1]
	v_mov_b32_e32 v24, v25
	v_mov_b32_e32 v25, v20
	v_pk_add_f32 v[18:19], v[24:25], v[18:19] neg_lo:[0,1] neg_hi:[0,1]
	v_mov_b32_e32 v40, v30
	v_pk_add_f32 v[20:21], v[40:41], v[18:19]
	v_mov_b32_e32 v24, v21
	v_pk_add_f32 v[24:25], v[20:21], v[24:25]
	v_pk_add_f32 v[22:23], v[22:23], v[24:25]
	v_mov_b32_e32 v21, v22
	v_pk_add_f32 v[28:29], v[20:21], v[30:31] neg_lo:[0,1] neg_hi:[0,1]
	v_mov_b32_e32 v19, v24
	v_sub_f32_e32 v20, v20, v28
	v_pk_add_f32 v[18:19], v[18:19], v[28:29] neg_lo:[0,1] neg_hi:[0,1]
	v_sub_f32_e32 v20, v30, v20
	v_add_f32_e32 v18, v18, v20
	v_cmp_eq_f32_e64 s[0:1], s2, v42
	s_mov_b32 s2, 0x33800000
	v_add_f32_e32 v18, v18, v19
	v_cmp_gt_f32_e64 s[2:3], s2, v42
	v_add_f32_e32 v18, v22, v18
	s_or_b64 s[0:1], s[2:3], s[0:1]
	v_cndmask_b32_e64 v48, v18, v42, s[0:1]
.LBB8_16:
	s_or_b64 exec, exec, s[14:15]
	v_mov_b32_e32 v18, s19
	v_add_co_u32_e64 v28, s[0:1], s18, v56
	v_addc_co_u32_e64 v29, s[0:1], v57, v18, s[0:1]
	global_load_dword v49, v[28:29], off
	s_mov_b32 s2, 0xc2ce8ed0
	v_mov_b32_e32 v80, 0
	s_mov_b32 s3, 0x42b17218
	v_mov_b32_e32 v57, 0x7f800000
	ds_read_b128 v[30:33], v80
	ds_read_b128 v[40:43], v80 offset:16
	ds_read_b128 v[22:25], v80 offset:32
	;; [unrolled: 1-line block ×5, first 2 shown]
	s_waitcnt vmcnt(0)
	v_pk_mul_f32 v[74:75], v[48:49], v[14:15] op_sel_hi:[0,1]
	v_mul_f32_e32 v56, 0x3fb8aa3b, v75
	v_pk_mul_f32 v[76:77], v[48:49], v[16:17] op_sel_hi:[0,1]
	v_mul_f32_e32 v81, 0x3fb8aa3b, v74
	v_fma_f32 v85, v75, s7, -v56
	v_rndne_f32_e32 v89, v56
	v_mul_f32_e32 v82, 0x3fb8aa3b, v77
	v_fma_f32 v86, v74, s7, -v81
	v_rndne_f32_e32 v90, v81
	v_fmac_f32_e32 v85, 0x32a5705f, v75
	v_sub_f32_e32 v56, v56, v89
	v_mul_f32_e32 v83, 0x3fb8aa3b, v76
	v_fma_f32 v87, v77, s7, -v82
	v_rndne_f32_e32 v91, v82
	v_fmac_f32_e32 v86, 0x32a5705f, v74
	v_sub_f32_e32 v81, v81, v90
	v_add_f32_e32 v56, v56, v85
	v_fma_f32 v88, v76, s7, -v83
	v_rndne_f32_e32 v92, v83
	v_fmac_f32_e32 v87, 0x32a5705f, v77
	v_cvt_i32_f32_e32 v89, v89
	v_sub_f32_e32 v82, v82, v91
	v_add_f32_e32 v81, v81, v86
	v_exp_f32_e32 v56, v56
	v_fmac_f32_e32 v88, 0x32a5705f, v76
	v_cvt_i32_f32_e32 v90, v90
	v_sub_f32_e32 v83, v83, v92
	v_add_f32_e32 v82, v82, v87
	v_exp_f32_e32 v81, v81
	v_cvt_i32_f32_e32 v91, v91
	v_add_f32_e32 v83, v83, v88
	v_exp_f32_e32 v82, v82
	v_cvt_i32_f32_e32 v92, v92
	v_exp_f32_e32 v83, v83
	v_ldexp_f32 v56, v56, v89
	v_cmp_ngt_f32_e64 s[0:1], s2, v75
	v_ldexp_f32 v81, v81, v90
	v_cndmask_b32_e64 v56, 0, v56, s[0:1]
	v_cmp_ngt_f32_e64 s[0:1], s2, v74
	v_ldexp_f32 v82, v82, v91
	v_cndmask_b32_e64 v81, 0, v81, s[0:1]
	;; [unrolled: 3-line block ×3, first 2 shown]
	v_cmp_ngt_f32_e64 s[0:1], s2, v76
	v_cndmask_b32_e64 v83, 0, v83, s[0:1]
	v_cmp_nlt_f32_e64 s[0:1], s3, v75
	v_cndmask_b32_e64 v75, v57, v56, s[0:1]
	v_cmp_nlt_f32_e64 s[0:1], s3, v74
	v_mul_f32_e32 v56, v48, v49
	v_cndmask_b32_e64 v74, v57, v81, s[0:1]
	v_cmp_nlt_f32_e64 s[0:1], s3, v77
	s_waitcnt lgkmcnt(5)
	v_pk_mul_f32 v[30:31], v[56:57], v[30:31] op_sel_hi:[0,1]
	v_pk_mul_f32 v[78:79], v[48:49], v[10:11] op_sel_hi:[0,1]
	v_cndmask_b32_e64 v77, v57, v82, s[0:1]
	v_cmp_nlt_f32_e64 s[0:1], s3, v76
	v_pk_fma_f32 v[30:31], v[58:59], v[74:75], v[30:31]
	v_mul_f32_e32 v84, 0x3fb8aa3b, v79
	v_cndmask_b32_e64 v76, v57, v83, s[0:1]
	v_pk_mul_f32 v[32:33], v[56:57], v[32:33] op_sel_hi:[0,1]
	s_waitcnt lgkmcnt(1)
	v_fma_f32 v74, v44, v30, 0
	v_fma_f32 v93, v79, s7, -v84
	v_rndne_f32_e32 v94, v84
	v_pk_fma_f32 v[32:33], v[60:61], v[76:77], v[32:33]
	v_fmac_f32_e32 v74, v45, v31
	v_fmac_f32_e32 v93, 0x32a5705f, v79
	v_sub_f32_e32 v84, v84, v94
	v_fmac_f32_e32 v74, v46, v32
	v_mul_f32_e32 v45, 0x3fb8aa3b, v78
	v_add_f32_e32 v84, v84, v93
	v_fmac_f32_e32 v74, v47, v33
	v_fma_f32 v46, v78, s7, -v45
	v_rndne_f32_e32 v47, v45
	v_cvt_i32_f32_e32 v94, v94
	v_exp_f32_e32 v84, v84
	v_fmac_f32_e32 v46, 0x32a5705f, v78
	v_sub_f32_e32 v45, v45, v47
	v_add_f32_e32 v45, v45, v46
	v_exp_f32_e32 v46, v45
	v_cvt_i32_f32_e32 v47, v47
	v_ldexp_f32 v44, v84, v94
	v_cmp_ngt_f32_e64 s[0:1], s2, v79
	v_cndmask_b32_e64 v44, 0, v44, s[0:1]
	v_cmp_nlt_f32_e64 s[0:1], s3, v79
	v_cndmask_b32_e64 v45, v57, v44, s[0:1]
	v_ldexp_f32 v44, v46, v47
	v_pk_mul_f32 v[46:47], v[48:49], v[12:13] op_sel_hi:[0,1]
	v_mul_f32_e32 v49, 0x3fb8aa3b, v47
	v_fma_f32 v58, v47, s7, -v49
	v_rndne_f32_e32 v59, v49
	v_fmac_f32_e32 v58, 0x32a5705f, v47
	v_sub_f32_e32 v49, v49, v59
	v_add_f32_e32 v49, v49, v58
	v_cmp_ngt_f32_e64 s[0:1], s2, v78
	v_exp_f32_e32 v49, v49
	v_cvt_i32_f32_e32 v58, v59
	v_cndmask_b32_e64 v44, 0, v44, s[0:1]
	v_cmp_nlt_f32_e64 s[0:1], s3, v78
	v_cndmask_b32_e64 v44, v57, v44, s[0:1]
	v_pk_mul_f32 v[40:41], v[56:57], v[40:41] op_sel_hi:[0,1]
	v_pk_fma_f32 v[40:41], v[62:63], v[44:45], v[40:41]
	v_mul_f32_e32 v45, 0x3fb8aa3b, v46
	v_ldexp_f32 v44, v49, v58
	v_fma_f32 v49, v46, s7, -v45
	v_rndne_f32_e32 v58, v45
	v_fmac_f32_e32 v49, 0x32a5705f, v46
	v_sub_f32_e32 v45, v45, v58
	v_add_f32_e32 v45, v45, v49
	v_exp_f32_e32 v49, v45
	v_cvt_i32_f32_e32 v58, v58
	v_cmp_ngt_f32_e64 s[0:1], s2, v47
	v_cndmask_b32_e64 v44, 0, v44, s[0:1]
	v_cmp_nlt_f32_e64 s[0:1], s3, v47
	v_cndmask_b32_e64 v45, v57, v44, s[0:1]
	v_ldexp_f32 v44, v49, v58
	v_cmp_ngt_f32_e64 s[0:1], s2, v46
	v_cndmask_b32_e64 v44, 0, v44, s[0:1]
	v_cmp_nlt_f32_e64 s[0:1], s3, v46
	v_pk_mul_f32 v[46:47], v[48:49], v[6:7] op_sel_hi:[0,1]
	v_mul_f32_e32 v49, 0x3fb8aa3b, v47
	v_fma_f32 v58, v47, s7, -v49
	v_rndne_f32_e32 v59, v49
	v_fmac_f32_e32 v58, 0x32a5705f, v47
	v_sub_f32_e32 v49, v49, v59
	v_add_f32_e32 v49, v49, v58
	v_exp_f32_e32 v49, v49
	v_cvt_i32_f32_e32 v58, v59
	v_cndmask_b32_e64 v44, v57, v44, s[0:1]
	v_pk_mul_f32 v[42:43], v[56:57], v[42:43] op_sel_hi:[0,1]
	v_pk_fma_f32 v[42:43], v[64:65], v[44:45], v[42:43]
	v_mul_f32_e32 v45, 0x3fb8aa3b, v46
	v_ldexp_f32 v44, v49, v58
	v_fma_f32 v49, v46, s7, -v45
	v_rndne_f32_e32 v58, v45
	v_fmac_f32_e32 v49, 0x32a5705f, v46
	v_sub_f32_e32 v45, v45, v58
	v_add_f32_e32 v45, v45, v49
	v_exp_f32_e32 v49, v45
	v_cvt_i32_f32_e32 v58, v58
	v_cmp_ngt_f32_e64 s[0:1], s2, v47
	v_cndmask_b32_e64 v44, 0, v44, s[0:1]
	v_cmp_nlt_f32_e64 s[0:1], s3, v47
	v_cndmask_b32_e64 v45, v57, v44, s[0:1]
	v_ldexp_f32 v44, v49, v58
	v_cmp_ngt_f32_e64 s[0:1], s2, v46
	v_cndmask_b32_e64 v44, 0, v44, s[0:1]
	v_cmp_nlt_f32_e64 s[0:1], s3, v46
	v_cndmask_b32_e64 v44, v57, v44, s[0:1]
	v_pk_mul_f32 v[22:23], v[56:57], v[22:23] op_sel_hi:[0,1]
	v_pk_fma_f32 v[44:45], v[66:67], v[44:45], v[22:23]
	v_pk_mul_f32 v[22:23], v[48:49], v[8:9] op_sel_hi:[0,1]
	v_mul_f32_e32 v46, 0x3fb8aa3b, v23
	v_fma_f32 v47, v23, s7, -v46
	v_rndne_f32_e32 v49, v46
	v_fmac_f32_e32 v47, 0x32a5705f, v23
	v_sub_f32_e32 v46, v46, v49
	v_add_f32_e32 v46, v46, v47
	ds_read_b128 v[58:61], v80 offset:96
	ds_read_b128 v[62:65], v80 offset:112
	v_exp_f32_e32 v46, v46
	v_cvt_i32_f32_e32 v47, v49
	s_waitcnt lgkmcnt(2)
	v_fmac_f32_e32 v74, v70, v40
	v_fmac_f32_e32 v74, v71, v41
	;; [unrolled: 1-line block ×4, first 2 shown]
	v_ldexp_f32 v46, v46, v47
	v_mul_f32_e32 v47, 0x3fb8aa3b, v22
	s_waitcnt lgkmcnt(1)
	v_fmac_f32_e32 v74, v58, v44
	v_fma_f32 v49, v22, s7, -v47
	v_rndne_f32_e32 v58, v47
	v_fmac_f32_e32 v49, 0x32a5705f, v22
	v_sub_f32_e32 v47, v47, v58
	v_add_f32_e32 v47, v47, v49
	v_exp_f32_e32 v47, v47
	v_cvt_i32_f32_e32 v49, v58
	v_cmp_ngt_f32_e64 s[0:1], s2, v23
	v_cndmask_b32_e64 v46, 0, v46, s[0:1]
	v_cmp_nlt_f32_e64 s[0:1], s3, v23
	v_cndmask_b32_e64 v23, v57, v46, s[0:1]
	v_ldexp_f32 v46, v47, v49
	v_cmp_ngt_f32_e64 s[0:1], s2, v22
	v_fmac_f32_e32 v74, v59, v45
	v_cndmask_b32_e64 v46, 0, v46, s[0:1]
	v_cmp_nlt_f32_e64 s[0:1], s3, v22
	v_pk_mul_f32 v[58:59], v[48:49], v[2:3] op_sel_hi:[0,1]
	v_cndmask_b32_e64 v22, v57, v46, s[0:1]
	v_mul_f32_e32 v46, 0x3fb8aa3b, v59
	v_fma_f32 v47, v59, s7, -v46
	v_rndne_f32_e32 v49, v46
	v_fmac_f32_e32 v47, 0x32a5705f, v59
	v_sub_f32_e32 v46, v46, v49
	v_pk_mul_f32 v[24:25], v[56:57], v[24:25] op_sel_hi:[0,1]
	v_add_f32_e32 v46, v46, v47
	v_exp_f32_e32 v66, v46
	v_pk_fma_f32 v[46:47], v[50:51], v[22:23], v[24:25]
	v_mul_f32_e32 v23, 0x3fb8aa3b, v58
	v_fma_f32 v24, v58, s7, -v23
	v_rndne_f32_e32 v25, v23
	v_cvt_i32_f32_e32 v49, v49
	v_fmac_f32_e32 v24, 0x32a5705f, v58
	v_sub_f32_e32 v23, v23, v25
	v_add_f32_e32 v23, v23, v24
	v_exp_f32_e32 v24, v23
	v_cvt_i32_f32_e32 v25, v25
	v_ldexp_f32 v22, v66, v49
	v_cmp_ngt_f32_e64 s[0:1], s2, v59
	v_cndmask_b32_e64 v22, 0, v22, s[0:1]
	v_cmp_nlt_f32_e64 s[0:1], s3, v59
	v_cndmask_b32_e64 v23, v57, v22, s[0:1]
	v_ldexp_f32 v22, v24, v25
	v_pk_mul_f32 v[24:25], v[48:49], v[4:5] op_sel_hi:[0,1]
	v_mul_f32_e32 v48, 0x3fb8aa3b, v25
	v_cmp_ngt_f32_e64 s[0:1], s2, v58
	v_fma_f32 v49, v25, s7, -v48
	v_rndne_f32_e32 v50, v48
	v_cndmask_b32_e64 v22, 0, v22, s[0:1]
	v_cmp_nlt_f32_e64 s[0:1], s3, v58
	v_fmac_f32_e32 v49, 0x32a5705f, v25
	v_sub_f32_e32 v48, v48, v50
	v_cndmask_b32_e64 v22, v57, v22, s[0:1]
	v_pk_mul_f32 v[18:19], v[56:57], v[18:19] op_sel_hi:[0,1]
	v_add_f32_e32 v48, v48, v49
	v_exp_f32_e32 v51, v48
	v_pk_fma_f32 v[48:49], v[52:53], v[22:23], v[18:19]
	v_mul_f32_e32 v19, 0x3fb8aa3b, v24
	v_fma_f32 v22, v24, s7, -v19
	v_rndne_f32_e32 v23, v19
	v_cvt_i32_f32_e32 v50, v50
	v_fmac_f32_e32 v22, 0x32a5705f, v24
	v_sub_f32_e32 v19, v19, v23
	v_add_f32_e32 v19, v19, v22
	v_exp_f32_e32 v22, v19
	v_cvt_i32_f32_e32 v23, v23
	v_ldexp_f32 v18, v51, v50
	v_cmp_ngt_f32_e64 s[0:1], s2, v25
	v_cndmask_b32_e64 v18, 0, v18, s[0:1]
	v_cmp_nlt_f32_e64 s[0:1], s3, v25
	v_fmac_f32_e32 v74, v60, v46
	v_cndmask_b32_e64 v19, v57, v18, s[0:1]
	v_ldexp_f32 v18, v22, v23
	v_cmp_ngt_f32_e64 s[0:1], s2, v24
	v_fmac_f32_e32 v74, v61, v47
	v_cndmask_b32_e64 v18, 0, v18, s[0:1]
	v_cmp_nlt_f32_e64 s[0:1], s3, v24
	s_waitcnt lgkmcnt(0)
	v_fmac_f32_e32 v74, v62, v48
	v_cndmask_b32_e64 v18, v57, v18, s[0:1]
	v_pk_mul_f32 v[20:21], v[56:57], v[20:21] op_sel_hi:[0,1]
	v_fmac_f32_e32 v74, v63, v49
	v_pk_fma_f32 v[50:51], v[54:55], v[18:19], v[20:21]
	v_fmac_f32_e32 v74, v64, v50
	v_fmac_f32_e32 v74, v65, v51
	v_mad_i64_i32 v[18:19], s[0:1], s20, 12, v[38:39]
	global_store_dword v[18:19], v74, off
	s_barrier
	s_and_saveexec_b64 s[2:3], vcc
	s_cbranch_execz .LBB8_18
; %bb.17:
	s_lshl_b64 s[0:1], s[8:9], 4
	v_mov_b32_e32 v19, s1
	v_add_co_u32_e64 v18, s[0:1], s0, v0
	v_addc_co_u32_e64 v19, s[0:1], v1, v19, s[0:1]
	s_lshl_b64 s[0:1], s[10:11], 4
	global_load_dword v20, v[18:19], off
	v_mov_b32_e32 v19, s1
	v_add_co_u32_e64 v18, s[0:1], s0, v36
	v_addc_co_u32_e64 v19, s[0:1], v37, v19, s[0:1]
	global_load_dword v18, v[18:19], off
	s_waitcnt vmcnt(1)
	ds_write_b32 v68, v20
	s_waitcnt vmcnt(0)
	ds_write_b32 v69, v18
.LBB8_18:
	s_or_b64 exec, exec, s[2:3]
	v_mov_b32_e32 v18, s17
	v_add_co_u32_e64 v26, s[0:1], s16, v26
	v_addc_co_u32_e64 v27, s[0:1], v27, v18, s[0:1]
	s_waitcnt lgkmcnt(0)
	s_barrier
	global_load_dword v52, v[26:27], off
	s_mov_b32 s0, 0x41a00000
	s_waitcnt vmcnt(0)
	v_cmp_ge_f32_e64 s[0:1], s0, v52
	s_and_saveexec_b64 s[14:15], s[0:1]
	s_cbranch_execz .LBB8_20
; %bb.19:
	v_mul_f32_e32 v18, 0x3fb8aa3b, v52
	s_mov_b32 s0, 0x3fb8aa3b
	v_rndne_f32_e32 v19, v18
	v_sub_f32_e32 v20, v18, v19
	v_fma_f32 v18, v52, s0, -v18
	v_fmac_f32_e32 v18, 0x32a5705f, v52
	v_add_f32_e32 v18, v20, v18
	v_exp_f32_e32 v18, v18
	v_cvt_i32_f32_e32 v19, v19
	s_mov_b32 s0, 0xc2ce8ed0
	v_cmp_ngt_f32_e64 s[0:1], s0, v52
	s_mov_b32 s2, 0x7f800000
	v_ldexp_f32 v18, v18, v19
	v_cndmask_b32_e64 v18, 0, v18, s[0:1]
	s_mov_b32 s0, 0x42b17218
	v_mov_b32_e32 v19, 0x7f800000
	v_cmp_nlt_f32_e64 s[0:1], s0, v52
	v_cndmask_b32_e64 v60, v19, v18, s[0:1]
	v_add_f32_e32 v20, 1.0, v60
	v_add_f32_e32 v18, -1.0, v20
	v_sub_f32_e32 v19, v18, v20
	v_add_f32_e32 v19, 1.0, v19
	v_sub_f32_e32 v18, v60, v18
	v_add_f32_e32 v21, v18, v19
	v_frexp_mant_f32_e32 v22, v20
	s_mov_b32 s0, 0x3f2aaaab
	v_cvt_f64_f32_e32 v[18:19], v20
	v_frexp_exp_i32_f64_e32 v18, v[18:19]
	v_cmp_gt_f32_e64 s[0:1], s0, v22
	v_subbrev_co_u32_e64 v52, s[0:1], 0, v18, s[0:1]
	v_sub_u32_e32 v18, 0, v52
	v_ldexp_f32 v19, v20, v18
	v_add_f32_e32 v20, -1.0, v19
	v_add_f32_e32 v22, 1.0, v19
	v_ldexp_f32 v18, v21, v18
	v_add_f32_e32 v21, 1.0, v20
	v_add_f32_e32 v23, -1.0, v22
	v_sub_f32_e32 v21, v19, v21
	v_sub_f32_e32 v19, v19, v23
	v_add_f32_e32 v21, v18, v21
	v_add_f32_e32 v18, v18, v19
	;; [unrolled: 1-line block ×3, first 2 shown]
	v_rcp_f32_e32 v55, v53
	v_sub_f32_e32 v19, v22, v53
	v_add_f32_e32 v54, v18, v19
	v_add_f32_e32 v19, v20, v21
	v_mul_f32_e32 v57, v19, v55
	v_sub_f32_e32 v18, v20, v19
	v_mul_f32_e32 v20, v53, v57
	v_fma_f32 v22, v57, v53, -v20
	v_fmac_f32_e32 v22, v57, v54
	v_add_f32_e32 v56, v21, v18
	v_add_f32_e32 v18, v20, v22
	v_sub_f32_e32 v21, v19, v18
	v_pk_add_f32 v[24:25], v[18:19], v[20:21] neg_lo:[0,1] neg_hi:[0,1]
	v_mov_b32_e32 v23, v18
	v_pk_add_f32 v[18:19], v[24:25], v[22:23] neg_lo:[0,1] neg_hi:[0,1]
	v_add_f32_e32 v19, v56, v19
	v_add_f32_e32 v18, v18, v19
	;; [unrolled: 1-line block ×3, first 2 shown]
	v_mul_f32_e32 v56, v55, v19
	v_mul_f32_e32 v20, v53, v56
	v_fma_f32 v22, v56, v53, -v20
	v_fmac_f32_e32 v22, v56, v54
	v_sub_f32_e32 v21, v21, v19
	v_add_f32_e32 v53, v18, v21
	v_add_f32_e32 v18, v20, v22
	v_sub_f32_e32 v21, v19, v18
	v_pk_add_f32 v[24:25], v[18:19], v[20:21] neg_lo:[0,1] neg_hi:[0,1]
	v_mov_b32_e32 v23, v18
	v_pk_add_f32 v[18:19], v[24:25], v[22:23] neg_lo:[0,1] neg_hi:[0,1]
	v_add_f32_e32 v19, v53, v19
	v_add_f32_e32 v18, v18, v19
	;; [unrolled: 1-line block ×4, first 2 shown]
	v_sub_f32_e32 v19, v21, v57
	v_mul_f32_e32 v18, v55, v18
	v_sub_f32_e32 v19, v56, v19
	v_add_f32_e32 v18, v19, v18
	v_add_f32_e32 v22, v21, v18
	v_mul_f32_e32 v24, v22, v22
	v_mov_b32_e32 v20, 0x3ecc95a3
	v_fmac_f32_e32 v20, 0x3e9b6dac, v24
	v_mov_b32_e32 v19, 0x3f2aaada
	v_fmac_f32_e32 v19, v24, v20
	v_cvt_f32_i32_e32 v20, v52
	v_sub_f32_e32 v21, v22, v21
	v_sub_f32_e32 v18, v18, v21
	v_ldexp_f32 v25, v18, 1
	v_mul_f32_e32 v21, v22, v24
	v_mov_b32_e32 v18, 0x3f317218
	s_mov_b32 s0, 0x3f317218
	v_pk_mul_f32 v[18:19], v[20:21], v[18:19]
	v_ldexp_f32 v23, v22, 1
	v_fma_f32 v22, v20, s0, -v18
	v_fmac_f32_e32 v22, 0xb102e308, v20
	v_pk_add_f32 v[20:21], v[18:19], v[22:23]
	v_sub_f32_e32 v23, v21, v23
	v_sub_f32_e32 v23, v19, v23
	v_add_f32_e32 v25, v25, v23
	v_mov_b32_e32 v24, v18
	v_pk_add_f32 v[18:19], v[20:21], v[18:19] neg_lo:[0,1] neg_hi:[0,1]
	v_pk_add_f32 v[52:53], v[20:21], v[24:25]
	v_mov_b32_e32 v19, v53
	v_mov_b32_e32 v23, v20
	v_pk_add_f32 v[54:55], v[22:23], v[18:19] neg_lo:[0,1] neg_hi:[0,1]
	v_pk_add_f32 v[18:19], v[22:23], v[18:19]
	v_mov_b32_e32 v22, v19
	v_pk_add_f32 v[56:57], v[22:23], v[20:21] neg_lo:[0,1] neg_hi:[0,1]
	v_mov_b32_e32 v23, v56
	v_pk_add_f32 v[58:59], v[52:53], v[22:23] neg_lo:[0,1] neg_hi:[0,1]
	v_mov_b32_e32 v18, v53
	v_mov_b32_e32 v52, v21
	;; [unrolled: 1-line block ×4, first 2 shown]
	v_pk_add_f32 v[18:19], v[18:19], v[52:53] neg_lo:[0,1] neg_hi:[0,1]
	v_mov_b32_e32 v24, v25
	v_mov_b32_e32 v25, v20
	v_pk_add_f32 v[18:19], v[24:25], v[18:19] neg_lo:[0,1] neg_hi:[0,1]
	v_mov_b32_e32 v58, v54
	v_pk_add_f32 v[20:21], v[58:59], v[18:19]
	v_mov_b32_e32 v24, v21
	v_pk_add_f32 v[24:25], v[20:21], v[24:25]
	v_pk_add_f32 v[22:23], v[22:23], v[24:25]
	v_mov_b32_e32 v21, v22
	v_pk_add_f32 v[52:53], v[20:21], v[54:55] neg_lo:[0,1] neg_hi:[0,1]
	v_mov_b32_e32 v19, v24
	v_sub_f32_e32 v20, v20, v52
	v_pk_add_f32 v[18:19], v[18:19], v[52:53] neg_lo:[0,1] neg_hi:[0,1]
	v_sub_f32_e32 v20, v54, v20
	v_add_f32_e32 v18, v18, v20
	v_cmp_eq_f32_e64 s[0:1], s2, v60
	s_mov_b32 s2, 0x33800000
	v_add_f32_e32 v18, v18, v19
	v_cmp_gt_f32_e64 s[2:3], s2, v60
	v_add_f32_e32 v18, v22, v18
	s_or_b64 s[0:1], s[2:3], s[0:1]
	v_cndmask_b32_e64 v52, v18, v60, s[0:1]
.LBB8_20:
	s_or_b64 exec, exec, s[14:15]
	v_mov_b32_e32 v18, s19
	v_add_co_u32_e64 v28, s[0:1], s18, v28
	v_addc_co_u32_e64 v29, s[0:1], v29, v18, s[0:1]
	global_load_dword v80, v[28:29], off
	v_pk_mul_f32 v[54:55], v[52:53], v[14:15] op_sel_hi:[0,1]
	v_mov_b32_e32 v53, 0x7f800000
	v_mul_f32_e32 v78, 0x3fb8aa3b, v55
	v_pk_mul_f32 v[74:75], v[52:53], v[16:17] op_sel_hi:[0,1]
	v_mul_f32_e32 v79, 0x3fb8aa3b, v54
	v_fma_f32 v85, v55, s7, -v78
	v_rndne_f32_e32 v89, v78
	v_mul_f32_e32 v82, 0x3fb8aa3b, v75
	v_fma_f32 v86, v54, s7, -v79
	v_rndne_f32_e32 v90, v79
	v_fmac_f32_e32 v85, 0x32a5705f, v55
	v_sub_f32_e32 v78, v78, v89
	v_mul_f32_e32 v83, 0x3fb8aa3b, v74
	v_fma_f32 v87, v75, s7, -v82
	v_rndne_f32_e32 v91, v82
	v_fmac_f32_e32 v86, 0x32a5705f, v54
	v_sub_f32_e32 v79, v79, v90
	v_add_f32_e32 v78, v78, v85
	v_fma_f32 v88, v74, s7, -v83
	v_rndne_f32_e32 v92, v83
	v_fmac_f32_e32 v87, 0x32a5705f, v75
	v_cvt_i32_f32_e32 v89, v89
	v_sub_f32_e32 v82, v82, v91
	v_add_f32_e32 v79, v79, v86
	v_exp_f32_e32 v78, v78
	v_fmac_f32_e32 v88, 0x32a5705f, v74
	v_cvt_i32_f32_e32 v90, v90
	v_sub_f32_e32 v83, v83, v92
	v_add_f32_e32 v82, v82, v87
	v_exp_f32_e32 v79, v79
	v_cvt_i32_f32_e32 v91, v91
	v_add_f32_e32 v83, v83, v88
	v_exp_f32_e32 v82, v82
	s_mov_b32 s2, 0xc2ce8ed0
	v_cvt_i32_f32_e32 v92, v92
	v_exp_f32_e32 v83, v83
	v_ldexp_f32 v78, v78, v89
	v_cmp_ngt_f32_e64 s[0:1], s2, v55
	v_ldexp_f32 v79, v79, v90
	v_cndmask_b32_e64 v78, 0, v78, s[0:1]
	v_cmp_ngt_f32_e64 s[0:1], s2, v54
	v_ldexp_f32 v82, v82, v91
	v_cndmask_b32_e64 v85, 0, v79, s[0:1]
	v_cmp_ngt_f32_e64 s[0:1], s2, v75
	s_mov_b32 s3, 0x42b17218
	v_ldexp_f32 v83, v83, v92
	v_cndmask_b32_e64 v82, 0, v82, s[0:1]
	v_cmp_ngt_f32_e64 s[0:1], s2, v74
	v_mov_b32_e32 v81, 0
	v_cndmask_b32_e64 v83, 0, v83, s[0:1]
	v_cmp_nlt_f32_e64 s[0:1], s3, v55
	v_pk_mul_f32 v[76:77], v[52:53], v[10:11] op_sel_hi:[0,1]
	ds_read_b128 v[56:59], v81
	ds_read_b128 v[60:63], v81 offset:16
	ds_read_b128 v[22:25], v81 offset:32
	ds_read_b128 v[18:21], v81 offset:48
	v_cndmask_b32_e64 v79, v53, v78, s[0:1]
	v_cmp_nlt_f32_e64 s[0:1], s3, v54
	v_mul_f32_e32 v84, 0x3fb8aa3b, v77
	v_cndmask_b32_e64 v78, v53, v85, s[0:1]
	v_cmp_nlt_f32_e64 s[0:1], s3, v75
	v_fma_f32 v93, v77, s7, -v84
	v_rndne_f32_e32 v94, v84
	v_cndmask_b32_e64 v75, v53, v82, s[0:1]
	v_cmp_nlt_f32_e64 s[0:1], s3, v74
	ds_read_b128 v[64:67], v81 offset:64
	ds_read_b128 v[70:73], v81 offset:80
	v_fmac_f32_e32 v93, 0x32a5705f, v77
	v_sub_f32_e32 v84, v84, v94
	v_cndmask_b32_e64 v74, v53, v83, s[0:1]
	v_add_f32_e32 v84, v84, v93
	v_cvt_i32_f32_e32 v94, v94
	v_exp_f32_e32 v84, v84
	v_cmp_ngt_f32_e64 s[0:1], s2, v77
	s_waitcnt vmcnt(0)
	v_mul_f32_e32 v54, v52, v80
	s_waitcnt lgkmcnt(5)
	v_pk_mul_f32 v[56:57], v[54:55], v[56:57] op_sel_hi:[0,1]
	v_pk_mul_f32 v[58:59], v[54:55], v[58:59] op_sel_hi:[0,1]
	v_pk_fma_f32 v[30:31], v[30:31], v[78:79], v[56:57]
	v_mul_f32_e32 v57, 0x3fb8aa3b, v76
	v_pk_fma_f32 v[32:33], v[32:33], v[74:75], v[58:59]
	v_fma_f32 v58, v76, s7, -v57
	v_rndne_f32_e32 v59, v57
	v_fmac_f32_e32 v58, 0x32a5705f, v76
	v_sub_f32_e32 v57, v57, v59
	v_add_f32_e32 v57, v57, v58
	s_waitcnt lgkmcnt(1)
	v_fma_f32 v55, v64, v30, 0
	v_exp_f32_e32 v58, v57
	v_cvt_i32_f32_e32 v59, v59
	v_fmac_f32_e32 v55, v65, v31
	v_fmac_f32_e32 v55, v66, v32
	v_ldexp_f32 v56, v84, v94
	v_fmac_f32_e32 v55, v67, v33
	v_cndmask_b32_e64 v56, 0, v56, s[0:1]
	v_cmp_nlt_f32_e64 s[0:1], s3, v77
	v_cndmask_b32_e64 v57, v53, v56, s[0:1]
	v_ldexp_f32 v56, v58, v59
	v_cmp_ngt_f32_e64 s[0:1], s2, v76
	v_pk_mul_f32 v[58:59], v[54:55], v[60:61] op_sel_hi:[0,1]
	v_pk_mul_f32 v[60:61], v[52:53], v[12:13] op_sel_hi:[0,1]
	v_cndmask_b32_e64 v56, 0, v56, s[0:1]
	v_cmp_nlt_f32_e64 s[0:1], s3, v76
	v_mul_f32_e32 v64, 0x3fb8aa3b, v61
	v_cndmask_b32_e64 v56, v53, v56, s[0:1]
	v_fma_f32 v65, v61, s7, -v64
	v_rndne_f32_e32 v66, v64
	v_fmac_f32_e32 v65, 0x32a5705f, v61
	v_sub_f32_e32 v64, v64, v66
	v_pk_fma_f32 v[40:41], v[40:41], v[56:57], v[58:59]
	v_mul_f32_e32 v57, 0x3fb8aa3b, v60
	v_add_f32_e32 v64, v64, v65
	v_fma_f32 v58, v60, s7, -v57
	v_rndne_f32_e32 v59, v57
	v_exp_f32_e32 v64, v64
	v_cvt_i32_f32_e32 v65, v66
	v_fmac_f32_e32 v58, 0x32a5705f, v60
	v_sub_f32_e32 v57, v57, v59
	v_add_f32_e32 v57, v57, v58
	v_exp_f32_e32 v58, v57
	v_cvt_i32_f32_e32 v59, v59
	v_ldexp_f32 v56, v64, v65
	v_cmp_ngt_f32_e64 s[0:1], s2, v61
	v_cndmask_b32_e64 v56, 0, v56, s[0:1]
	v_cmp_nlt_f32_e64 s[0:1], s3, v61
	s_waitcnt lgkmcnt(0)
	v_fmac_f32_e32 v55, v70, v40
	v_cndmask_b32_e64 v57, v53, v56, s[0:1]
	v_ldexp_f32 v56, v58, v59
	v_cmp_ngt_f32_e64 s[0:1], s2, v60
	v_fmac_f32_e32 v55, v71, v41
	v_cndmask_b32_e64 v56, 0, v56, s[0:1]
	v_cmp_nlt_f32_e64 s[0:1], s3, v60
	v_pk_mul_f32 v[60:61], v[52:53], v[6:7] op_sel_hi:[0,1]
	v_pk_mul_f32 v[58:59], v[54:55], v[62:63] op_sel_hi:[0,1]
	v_mul_f32_e32 v62, 0x3fb8aa3b, v61
	v_cndmask_b32_e64 v56, v53, v56, s[0:1]
	v_fma_f32 v63, v61, s7, -v62
	v_rndne_f32_e32 v64, v62
	v_fmac_f32_e32 v63, 0x32a5705f, v61
	v_sub_f32_e32 v62, v62, v64
	v_pk_fma_f32 v[42:43], v[42:43], v[56:57], v[58:59]
	v_mul_f32_e32 v57, 0x3fb8aa3b, v60
	v_add_f32_e32 v62, v62, v63
	v_fma_f32 v58, v60, s7, -v57
	v_rndne_f32_e32 v59, v57
	v_exp_f32_e32 v62, v62
	v_cvt_i32_f32_e32 v63, v64
	v_fmac_f32_e32 v58, 0x32a5705f, v60
	v_sub_f32_e32 v57, v57, v59
	v_add_f32_e32 v57, v57, v58
	v_exp_f32_e32 v58, v57
	v_cvt_i32_f32_e32 v59, v59
	v_ldexp_f32 v56, v62, v63
	v_cmp_ngt_f32_e64 s[0:1], s2, v61
	v_cndmask_b32_e64 v56, 0, v56, s[0:1]
	v_cmp_nlt_f32_e64 s[0:1], s3, v61
	v_fmac_f32_e32 v55, v72, v42
	v_cndmask_b32_e64 v57, v53, v56, s[0:1]
	v_ldexp_f32 v56, v58, v59
	v_cmp_ngt_f32_e64 s[0:1], s2, v60
	v_fmac_f32_e32 v55, v73, v43
	v_cndmask_b32_e64 v56, 0, v56, s[0:1]
	v_cmp_nlt_f32_e64 s[0:1], s3, v60
	v_cndmask_b32_e64 v56, v53, v56, s[0:1]
	v_pk_mul_f32 v[22:23], v[54:55], v[22:23] op_sel_hi:[0,1]
	v_pk_fma_f32 v[44:45], v[44:45], v[56:57], v[22:23]
	v_pk_mul_f32 v[22:23], v[52:53], v[8:9] op_sel_hi:[0,1]
	v_mul_f32_e32 v56, 0x3fb8aa3b, v23
	v_rndne_f32_e32 v61, v56
	v_fma_f32 v60, v23, s7, -v56
	v_sub_f32_e32 v62, v56, v61
	ds_read_b128 v[56:59], v81 offset:96
	v_fmac_f32_e32 v60, 0x32a5705f, v23
	v_add_f32_e32 v60, v62, v60
	v_exp_f32_e32 v64, v60
	v_cvt_i32_f32_e32 v65, v61
	ds_read_b128 v[60:63], v81 offset:112
	s_waitcnt lgkmcnt(1)
	v_fmac_f32_e32 v55, v56, v44
	v_fmac_f32_e32 v55, v57, v45
	v_mul_f32_e32 v57, 0x3fb8aa3b, v22
	v_ldexp_f32 v56, v64, v65
	v_fma_f32 v64, v22, s7, -v57
	v_rndne_f32_e32 v65, v57
	v_fmac_f32_e32 v64, 0x32a5705f, v22
	v_sub_f32_e32 v57, v57, v65
	v_add_f32_e32 v57, v57, v64
	v_exp_f32_e32 v57, v57
	v_cvt_i32_f32_e32 v64, v65
	v_cmp_ngt_f32_e64 s[0:1], s2, v23
	v_cndmask_b32_e64 v56, 0, v56, s[0:1]
	v_cmp_nlt_f32_e64 s[0:1], s3, v23
	v_cndmask_b32_e64 v23, v53, v56, s[0:1]
	v_ldexp_f32 v56, v57, v64
	v_cmp_ngt_f32_e64 s[0:1], s2, v22
	v_cndmask_b32_e64 v56, 0, v56, s[0:1]
	v_cmp_nlt_f32_e64 s[0:1], s3, v22
	v_cndmask_b32_e64 v22, v53, v56, s[0:1]
	v_pk_mul_f32 v[56:57], v[52:53], v[2:3] op_sel_hi:[0,1]
	v_mul_f32_e32 v64, 0x3fb8aa3b, v57
	v_pk_mul_f32 v[24:25], v[54:55], v[24:25] op_sel_hi:[0,1]
	v_fma_f32 v65, v57, s7, -v64
	v_rndne_f32_e32 v66, v64
	v_fmac_f32_e32 v65, 0x32a5705f, v57
	v_sub_f32_e32 v64, v64, v66
	v_pk_fma_f32 v[46:47], v[46:47], v[22:23], v[24:25]
	v_mul_f32_e32 v23, 0x3fb8aa3b, v56
	v_add_f32_e32 v64, v64, v65
	v_fma_f32 v24, v56, s7, -v23
	v_rndne_f32_e32 v25, v23
	v_exp_f32_e32 v64, v64
	v_cvt_i32_f32_e32 v65, v66
	v_fmac_f32_e32 v24, 0x32a5705f, v56
	v_sub_f32_e32 v23, v23, v25
	v_add_f32_e32 v23, v23, v24
	v_exp_f32_e32 v24, v23
	v_cvt_i32_f32_e32 v25, v25
	v_ldexp_f32 v22, v64, v65
	v_cmp_ngt_f32_e64 s[0:1], s2, v57
	v_cndmask_b32_e64 v22, 0, v22, s[0:1]
	v_cmp_nlt_f32_e64 s[0:1], s3, v57
	v_fmac_f32_e32 v55, v58, v46
	v_cndmask_b32_e64 v23, v53, v22, s[0:1]
	v_ldexp_f32 v22, v24, v25
	v_cmp_ngt_f32_e64 s[0:1], s2, v56
	v_pk_mul_f32 v[24:25], v[52:53], v[4:5] op_sel_hi:[0,1]
	v_fmac_f32_e32 v55, v59, v47
	v_cndmask_b32_e64 v22, 0, v22, s[0:1]
	v_cmp_nlt_f32_e64 s[0:1], s3, v56
	v_mul_f32_e32 v52, 0x3fb8aa3b, v25
	v_cndmask_b32_e64 v22, v53, v22, s[0:1]
	v_pk_mul_f32 v[18:19], v[54:55], v[18:19] op_sel_hi:[0,1]
	v_fma_f32 v56, v25, s7, -v52
	v_rndne_f32_e32 v57, v52
	v_fmac_f32_e32 v56, 0x32a5705f, v25
	v_sub_f32_e32 v52, v52, v57
	v_pk_fma_f32 v[48:49], v[48:49], v[22:23], v[18:19]
	v_mul_f32_e32 v19, 0x3fb8aa3b, v24
	v_add_f32_e32 v52, v52, v56
	v_fma_f32 v22, v24, s7, -v19
	v_rndne_f32_e32 v23, v19
	v_exp_f32_e32 v52, v52
	v_cvt_i32_f32_e32 v56, v57
	v_fmac_f32_e32 v22, 0x32a5705f, v24
	v_sub_f32_e32 v19, v19, v23
	v_add_f32_e32 v19, v19, v22
	v_exp_f32_e32 v22, v19
	v_cvt_i32_f32_e32 v23, v23
	v_ldexp_f32 v18, v52, v56
	v_cmp_ngt_f32_e64 s[0:1], s2, v25
	v_cndmask_b32_e64 v18, 0, v18, s[0:1]
	v_cmp_nlt_f32_e64 s[0:1], s3, v25
	s_waitcnt lgkmcnt(0)
	v_fmac_f32_e32 v55, v60, v48
	v_cndmask_b32_e64 v19, v53, v18, s[0:1]
	v_ldexp_f32 v18, v22, v23
	v_cmp_ngt_f32_e64 s[0:1], s2, v24
	v_fmac_f32_e32 v55, v61, v49
	v_cndmask_b32_e64 v18, 0, v18, s[0:1]
	v_cmp_nlt_f32_e64 s[0:1], s3, v24
	v_cndmask_b32_e64 v18, v53, v18, s[0:1]
	v_pk_mul_f32 v[20:21], v[54:55], v[20:21] op_sel_hi:[0,1]
	v_pk_fma_f32 v[50:51], v[50:51], v[18:19], v[20:21]
	s_ashr_i64 s[0:1], s[26:27], 28
	v_fmac_f32_e32 v55, v62, v50
	v_mov_b32_e32 v19, s1
	v_add_co_u32_e64 v18, s[0:1], s0, v38
	v_fmac_f32_e32 v55, v63, v51
	v_addc_co_u32_e64 v19, s[0:1], v39, v19, s[0:1]
	global_store_dword v[18:19], v55, off
	s_barrier
	s_and_saveexec_b64 s[0:1], vcc
	s_cbranch_execz .LBB8_22
; %bb.21:
	v_mad_i64_i32 v[18:19], s[2:3], s8, 20, v[0:1]
	global_load_dword v20, v[18:19], off
	v_mad_i64_i32 v[18:19], s[2:3], s10, 20, v[36:37]
	global_load_dword v18, v[18:19], off
	s_waitcnt vmcnt(1)
	ds_write_b32 v68, v20
	s_waitcnt vmcnt(0)
	ds_write_b32 v69, v18
.LBB8_22:
	s_or_b64 exec, exec, s[0:1]
	v_mov_b32_e32 v18, s17
	v_add_co_u32_e64 v54, s[0:1], s16, v26
	v_addc_co_u32_e64 v55, s[0:1], v27, v18, s[0:1]
	s_waitcnt lgkmcnt(0)
	s_barrier
	global_load_dword v58, v[54:55], off
	s_mov_b32 s0, 0x41a00000
	s_waitcnt vmcnt(0)
	v_cmp_ge_f32_e64 s[0:1], s0, v58
	s_and_saveexec_b64 s[14:15], s[0:1]
	s_cbranch_execz .LBB8_24
; %bb.23:
	v_mul_f32_e32 v18, 0x3fb8aa3b, v58
	s_mov_b32 s0, 0x3fb8aa3b
	v_rndne_f32_e32 v19, v18
	v_sub_f32_e32 v20, v18, v19
	v_fma_f32 v18, v58, s0, -v18
	v_fmac_f32_e32 v18, 0x32a5705f, v58
	v_add_f32_e32 v18, v20, v18
	v_exp_f32_e32 v18, v18
	v_cvt_i32_f32_e32 v19, v19
	s_mov_b32 s0, 0xc2ce8ed0
	v_cmp_ngt_f32_e64 s[0:1], s0, v58
	s_mov_b32 s2, 0x7f800000
	v_ldexp_f32 v18, v18, v19
	v_cndmask_b32_e64 v18, 0, v18, s[0:1]
	s_mov_b32 s0, 0x42b17218
	v_mov_b32_e32 v19, 0x7f800000
	v_cmp_nlt_f32_e64 s[0:1], s0, v58
	v_cndmask_b32_e64 v60, v19, v18, s[0:1]
	v_add_f32_e32 v20, 1.0, v60
	v_add_f32_e32 v18, -1.0, v20
	v_sub_f32_e32 v19, v18, v20
	v_add_f32_e32 v19, 1.0, v19
	v_sub_f32_e32 v18, v60, v18
	v_add_f32_e32 v21, v18, v19
	v_frexp_mant_f32_e32 v22, v20
	s_mov_b32 s0, 0x3f2aaaab
	v_cvt_f64_f32_e32 v[18:19], v20
	v_frexp_exp_i32_f64_e32 v18, v[18:19]
	v_cmp_gt_f32_e64 s[0:1], s0, v22
	v_subbrev_co_u32_e64 v26, s[0:1], 0, v18, s[0:1]
	v_sub_u32_e32 v18, 0, v26
	v_ldexp_f32 v19, v20, v18
	v_add_f32_e32 v20, -1.0, v19
	v_add_f32_e32 v22, 1.0, v19
	v_ldexp_f32 v18, v21, v18
	v_add_f32_e32 v21, 1.0, v20
	v_add_f32_e32 v23, -1.0, v22
	v_sub_f32_e32 v21, v19, v21
	v_sub_f32_e32 v19, v19, v23
	v_add_f32_e32 v21, v18, v21
	v_add_f32_e32 v18, v18, v19
	;; [unrolled: 1-line block ×3, first 2 shown]
	v_rcp_f32_e32 v53, v27
	v_sub_f32_e32 v19, v22, v27
	v_add_f32_e32 v52, v18, v19
	v_add_f32_e32 v19, v20, v21
	v_mul_f32_e32 v57, v19, v53
	v_sub_f32_e32 v18, v20, v19
	v_mul_f32_e32 v20, v27, v57
	v_fma_f32 v22, v57, v27, -v20
	v_fmac_f32_e32 v22, v57, v52
	v_add_f32_e32 v56, v21, v18
	v_add_f32_e32 v18, v20, v22
	v_sub_f32_e32 v21, v19, v18
	v_pk_add_f32 v[24:25], v[18:19], v[20:21] neg_lo:[0,1] neg_hi:[0,1]
	v_mov_b32_e32 v23, v18
	v_pk_add_f32 v[18:19], v[24:25], v[22:23] neg_lo:[0,1] neg_hi:[0,1]
	v_add_f32_e32 v19, v56, v19
	v_add_f32_e32 v18, v18, v19
	;; [unrolled: 1-line block ×3, first 2 shown]
	v_mul_f32_e32 v56, v53, v19
	v_mul_f32_e32 v20, v27, v56
	v_fma_f32 v22, v56, v27, -v20
	v_fmac_f32_e32 v22, v56, v52
	v_sub_f32_e32 v21, v21, v19
	v_add_f32_e32 v27, v18, v21
	v_add_f32_e32 v18, v20, v22
	v_sub_f32_e32 v21, v19, v18
	v_pk_add_f32 v[24:25], v[18:19], v[20:21] neg_lo:[0,1] neg_hi:[0,1]
	v_mov_b32_e32 v23, v18
	v_pk_add_f32 v[18:19], v[24:25], v[22:23] neg_lo:[0,1] neg_hi:[0,1]
	v_add_f32_e32 v19, v27, v19
	v_add_f32_e32 v18, v18, v19
	;; [unrolled: 1-line block ×4, first 2 shown]
	v_sub_f32_e32 v19, v21, v57
	v_mul_f32_e32 v18, v53, v18
	v_sub_f32_e32 v19, v56, v19
	v_add_f32_e32 v18, v19, v18
	v_add_f32_e32 v22, v21, v18
	v_mul_f32_e32 v24, v22, v22
	v_mov_b32_e32 v20, 0x3ecc95a3
	v_fmac_f32_e32 v20, 0x3e9b6dac, v24
	v_mov_b32_e32 v19, 0x3f2aaada
	v_fmac_f32_e32 v19, v24, v20
	v_cvt_f32_i32_e32 v20, v26
	v_sub_f32_e32 v21, v22, v21
	v_sub_f32_e32 v18, v18, v21
	v_ldexp_f32 v25, v18, 1
	v_mul_f32_e32 v21, v22, v24
	v_mov_b32_e32 v18, 0x3f317218
	s_mov_b32 s0, 0x3f317218
	v_pk_mul_f32 v[18:19], v[20:21], v[18:19]
	v_ldexp_f32 v23, v22, 1
	v_fma_f32 v22, v20, s0, -v18
	v_fmac_f32_e32 v22, 0xb102e308, v20
	v_pk_add_f32 v[20:21], v[18:19], v[22:23]
	v_sub_f32_e32 v23, v21, v23
	v_sub_f32_e32 v23, v19, v23
	v_add_f32_e32 v25, v25, v23
	v_mov_b32_e32 v24, v18
	v_pk_add_f32 v[18:19], v[20:21], v[18:19] neg_lo:[0,1] neg_hi:[0,1]
	v_pk_add_f32 v[26:27], v[20:21], v[24:25]
	v_mov_b32_e32 v19, v27
	v_mov_b32_e32 v23, v20
	v_pk_add_f32 v[52:53], v[22:23], v[18:19] neg_lo:[0,1] neg_hi:[0,1]
	v_pk_add_f32 v[18:19], v[22:23], v[18:19]
	v_mov_b32_e32 v22, v19
	v_pk_add_f32 v[56:57], v[22:23], v[20:21] neg_lo:[0,1] neg_hi:[0,1]
	v_mov_b32_e32 v23, v56
	v_pk_add_f32 v[58:59], v[26:27], v[22:23] neg_lo:[0,1] neg_hi:[0,1]
	v_mov_b32_e32 v18, v27
	v_mov_b32_e32 v26, v21
	;; [unrolled: 1-line block ×4, first 2 shown]
	v_pk_add_f32 v[18:19], v[18:19], v[26:27] neg_lo:[0,1] neg_hi:[0,1]
	v_mov_b32_e32 v24, v25
	v_mov_b32_e32 v25, v20
	v_pk_add_f32 v[18:19], v[24:25], v[18:19] neg_lo:[0,1] neg_hi:[0,1]
	v_mov_b32_e32 v58, v52
	v_pk_add_f32 v[20:21], v[58:59], v[18:19]
	v_mov_b32_e32 v24, v21
	v_pk_add_f32 v[24:25], v[20:21], v[24:25]
	v_pk_add_f32 v[22:23], v[22:23], v[24:25]
	v_mov_b32_e32 v21, v22
	v_pk_add_f32 v[26:27], v[20:21], v[52:53] neg_lo:[0,1] neg_hi:[0,1]
	v_mov_b32_e32 v19, v24
	v_sub_f32_e32 v20, v20, v26
	v_pk_add_f32 v[18:19], v[18:19], v[26:27] neg_lo:[0,1] neg_hi:[0,1]
	v_sub_f32_e32 v20, v52, v20
	v_add_f32_e32 v18, v18, v20
	v_cmp_eq_f32_e64 s[0:1], s2, v60
	s_mov_b32 s2, 0x33800000
	v_add_f32_e32 v18, v18, v19
	v_cmp_gt_f32_e64 s[2:3], s2, v60
	v_add_f32_e32 v18, v22, v18
	s_or_b64 s[0:1], s[2:3], s[0:1]
	v_cndmask_b32_e64 v58, v18, v60, s[0:1]
.LBB8_24:
	s_or_b64 exec, exec, s[14:15]
	v_mov_b32_e32 v18, s19
	v_add_co_u32_e64 v52, s[0:1], s18, v28
	v_addc_co_u32_e64 v53, s[0:1], v29, v18, s[0:1]
	global_load_dword v80, v[52:53], off
	v_pk_mul_f32 v[56:57], v[58:59], v[14:15] op_sel_hi:[0,1]
	v_mov_b32_e32 v59, 0x7f800000
	v_mul_f32_e32 v78, 0x3fb8aa3b, v57
	v_pk_mul_f32 v[60:61], v[58:59], v[16:17] op_sel_hi:[0,1]
	v_mul_f32_e32 v79, 0x3fb8aa3b, v56
	v_fma_f32 v85, v57, s7, -v78
	v_rndne_f32_e32 v89, v78
	v_mul_f32_e32 v82, 0x3fb8aa3b, v61
	v_fma_f32 v86, v56, s7, -v79
	v_rndne_f32_e32 v90, v79
	v_fmac_f32_e32 v85, 0x32a5705f, v57
	v_sub_f32_e32 v78, v78, v89
	v_mul_f32_e32 v83, 0x3fb8aa3b, v60
	v_fma_f32 v87, v61, s7, -v82
	v_rndne_f32_e32 v91, v82
	v_fmac_f32_e32 v86, 0x32a5705f, v56
	v_sub_f32_e32 v79, v79, v90
	v_add_f32_e32 v78, v78, v85
	v_fma_f32 v88, v60, s7, -v83
	v_rndne_f32_e32 v92, v83
	v_fmac_f32_e32 v87, 0x32a5705f, v61
	v_cvt_i32_f32_e32 v89, v89
	v_sub_f32_e32 v82, v82, v91
	v_add_f32_e32 v79, v79, v86
	v_exp_f32_e32 v78, v78
	v_fmac_f32_e32 v88, 0x32a5705f, v60
	v_cvt_i32_f32_e32 v90, v90
	v_sub_f32_e32 v83, v83, v92
	v_add_f32_e32 v82, v82, v87
	v_exp_f32_e32 v79, v79
	v_cvt_i32_f32_e32 v91, v91
	v_add_f32_e32 v83, v83, v88
	v_exp_f32_e32 v82, v82
	s_mov_b32 s2, 0xc2ce8ed0
	v_cvt_i32_f32_e32 v92, v92
	v_exp_f32_e32 v83, v83
	v_ldexp_f32 v78, v78, v89
	v_cmp_ngt_f32_e64 s[0:1], s2, v57
	v_ldexp_f32 v79, v79, v90
	v_cndmask_b32_e64 v78, 0, v78, s[0:1]
	v_cmp_ngt_f32_e64 s[0:1], s2, v56
	v_ldexp_f32 v82, v82, v91
	v_cndmask_b32_e64 v79, 0, v79, s[0:1]
	v_cmp_ngt_f32_e64 s[0:1], s2, v61
	s_mov_b32 s3, 0x42b17218
	v_ldexp_f32 v83, v83, v92
	v_cndmask_b32_e64 v82, 0, v82, s[0:1]
	v_cmp_ngt_f32_e64 s[0:1], s2, v60
	v_cndmask_b32_e64 v83, 0, v83, s[0:1]
	v_cmp_nlt_f32_e64 s[0:1], s3, v57
	v_mov_b32_e32 v81, 0
	v_cndmask_b32_e64 v57, v59, v78, s[0:1]
	v_cmp_nlt_f32_e64 s[0:1], s3, v56
	v_pk_mul_f32 v[66:67], v[58:59], v[10:11] op_sel_hi:[0,1]
	ds_read_b128 v[26:29], v81
	ds_read_b128 v[62:65], v81 offset:16
	ds_read_b128 v[22:25], v81 offset:32
	;; [unrolled: 1-line block ×3, first 2 shown]
	v_cndmask_b32_e64 v56, v59, v79, s[0:1]
	v_cmp_nlt_f32_e64 s[0:1], s3, v61
	v_mul_f32_e32 v84, 0x3fb8aa3b, v67
	v_cndmask_b32_e64 v79, v59, v82, s[0:1]
	v_cmp_nlt_f32_e64 s[0:1], s3, v60
	v_fma_f32 v93, v67, s7, -v84
	v_rndne_f32_e32 v94, v84
	v_fmac_f32_e32 v93, 0x32a5705f, v67
	v_sub_f32_e32 v84, v84, v94
	v_cndmask_b32_e64 v78, v59, v83, s[0:1]
	ds_read_b128 v[70:73], v81 offset:64
	ds_read_b128 v[74:77], v81 offset:80
	v_add_f32_e32 v84, v84, v93
	v_cvt_i32_f32_e32 v94, v94
	v_exp_f32_e32 v84, v84
	v_cmp_ngt_f32_e64 s[0:1], s2, v67
	s_waitcnt vmcnt(0)
	v_mul_f32_e32 v60, v58, v80
	s_waitcnt lgkmcnt(5)
	v_pk_mul_f32 v[26:27], v[60:61], v[26:27] op_sel_hi:[0,1]
	v_pk_mul_f32 v[28:29], v[60:61], v[28:29] op_sel_hi:[0,1]
	v_pk_fma_f32 v[56:57], v[30:31], v[56:57], v[26:27]
	v_mul_f32_e32 v27, 0x3fb8aa3b, v66
	v_pk_fma_f32 v[30:31], v[32:33], v[78:79], v[28:29]
	v_fma_f32 v28, v66, s7, -v27
	v_rndne_f32_e32 v29, v27
	v_fmac_f32_e32 v28, 0x32a5705f, v66
	v_sub_f32_e32 v27, v27, v29
	v_add_f32_e32 v27, v27, v28
	v_exp_f32_e32 v28, v27
	v_cvt_i32_f32_e32 v29, v29
	s_waitcnt lgkmcnt(1)
	v_fma_f32 v61, v70, v56, 0
	v_fmac_f32_e32 v61, v71, v57
	v_ldexp_f32 v26, v84, v94
	v_fmac_f32_e32 v61, v72, v30
	v_cndmask_b32_e64 v26, 0, v26, s[0:1]
	v_cmp_nlt_f32_e64 s[0:1], s3, v67
	v_fmac_f32_e32 v61, v73, v31
	v_cndmask_b32_e64 v27, v59, v26, s[0:1]
	v_ldexp_f32 v26, v28, v29
	v_cmp_ngt_f32_e64 s[0:1], s2, v66
	v_pk_mul_f32 v[32:33], v[58:59], v[12:13] op_sel_hi:[0,1]
	v_cndmask_b32_e64 v26, 0, v26, s[0:1]
	v_cmp_nlt_f32_e64 s[0:1], s3, v66
	v_pk_mul_f32 v[28:29], v[60:61], v[62:63] op_sel_hi:[0,1]
	v_mul_f32_e32 v62, 0x3fb8aa3b, v33
	v_cndmask_b32_e64 v26, v59, v26, s[0:1]
	v_fma_f32 v63, v33, s7, -v62
	v_rndne_f32_e32 v66, v62
	v_fmac_f32_e32 v63, 0x32a5705f, v33
	v_sub_f32_e32 v62, v62, v66
	v_pk_fma_f32 v[26:27], v[40:41], v[26:27], v[28:29]
	v_mul_f32_e32 v29, 0x3fb8aa3b, v32
	v_add_f32_e32 v62, v62, v63
	v_fma_f32 v40, v32, s7, -v29
	v_rndne_f32_e32 v41, v29
	v_exp_f32_e32 v62, v62
	v_cvt_i32_f32_e32 v63, v66
	v_fmac_f32_e32 v40, 0x32a5705f, v32
	v_sub_f32_e32 v29, v29, v41
	v_add_f32_e32 v29, v29, v40
	v_exp_f32_e32 v40, v29
	v_cvt_i32_f32_e32 v41, v41
	v_ldexp_f32 v28, v62, v63
	v_cmp_ngt_f32_e64 s[0:1], s2, v33
	v_cndmask_b32_e64 v28, 0, v28, s[0:1]
	v_cmp_nlt_f32_e64 s[0:1], s3, v33
	s_waitcnt lgkmcnt(0)
	v_fmac_f32_e32 v61, v74, v26
	v_cndmask_b32_e64 v29, v59, v28, s[0:1]
	v_ldexp_f32 v28, v40, v41
	v_cmp_ngt_f32_e64 s[0:1], s2, v32
	v_pk_mul_f32 v[40:41], v[58:59], v[6:7] op_sel_hi:[0,1]
	v_fmac_f32_e32 v61, v75, v27
	v_cndmask_b32_e64 v28, 0, v28, s[0:1]
	v_cmp_nlt_f32_e64 s[0:1], s3, v32
	v_mul_f32_e32 v62, 0x3fb8aa3b, v41
	v_cndmask_b32_e64 v28, v59, v28, s[0:1]
	v_pk_mul_f32 v[32:33], v[60:61], v[64:65] op_sel_hi:[0,1]
	v_fma_f32 v63, v41, s7, -v62
	v_rndne_f32_e32 v64, v62
	v_fmac_f32_e32 v63, 0x32a5705f, v41
	v_sub_f32_e32 v62, v62, v64
	v_pk_fma_f32 v[28:29], v[42:43], v[28:29], v[32:33]
	v_mul_f32_e32 v33, 0x3fb8aa3b, v40
	v_add_f32_e32 v62, v62, v63
	v_fma_f32 v42, v40, s7, -v33
	v_rndne_f32_e32 v43, v33
	v_exp_f32_e32 v62, v62
	v_cvt_i32_f32_e32 v63, v64
	v_fmac_f32_e32 v42, 0x32a5705f, v40
	v_sub_f32_e32 v33, v33, v43
	v_add_f32_e32 v33, v33, v42
	v_exp_f32_e32 v42, v33
	v_cvt_i32_f32_e32 v43, v43
	v_ldexp_f32 v32, v62, v63
	v_cmp_ngt_f32_e64 s[0:1], s2, v41
	v_cndmask_b32_e64 v32, 0, v32, s[0:1]
	v_cmp_nlt_f32_e64 s[0:1], s3, v41
	v_fmac_f32_e32 v61, v76, v28
	v_cndmask_b32_e64 v33, v59, v32, s[0:1]
	v_ldexp_f32 v32, v42, v43
	v_cmp_ngt_f32_e64 s[0:1], s2, v40
	v_fmac_f32_e32 v61, v77, v29
	v_cndmask_b32_e64 v32, 0, v32, s[0:1]
	v_cmp_nlt_f32_e64 s[0:1], s3, v40
	v_cndmask_b32_e64 v32, v59, v32, s[0:1]
	v_pk_mul_f32 v[22:23], v[60:61], v[22:23] op_sel_hi:[0,1]
	v_pk_fma_f32 v[22:23], v[44:45], v[32:33], v[22:23]
	v_pk_mul_f32 v[32:33], v[58:59], v[8:9] op_sel_hi:[0,1]
	v_mul_f32_e32 v40, 0x3fb8aa3b, v33
	v_rndne_f32_e32 v45, v40
	v_fma_f32 v44, v33, s7, -v40
	v_sub_f32_e32 v62, v40, v45
	ds_read_b128 v[40:43], v81 offset:96
	v_fmac_f32_e32 v44, 0x32a5705f, v33
	v_add_f32_e32 v44, v62, v44
	ds_read_b128 v[62:65], v81 offset:112
	v_exp_f32_e32 v44, v44
	v_cvt_i32_f32_e32 v45, v45
	s_waitcnt lgkmcnt(1)
	v_fmac_f32_e32 v61, v40, v22
	v_fmac_f32_e32 v61, v41, v23
	v_mul_f32_e32 v41, 0x3fb8aa3b, v32
	v_ldexp_f32 v40, v44, v45
	v_fma_f32 v44, v32, s7, -v41
	v_rndne_f32_e32 v45, v41
	v_fmac_f32_e32 v44, 0x32a5705f, v32
	v_sub_f32_e32 v41, v41, v45
	v_add_f32_e32 v41, v41, v44
	v_exp_f32_e32 v41, v41
	v_cvt_i32_f32_e32 v44, v45
	v_cmp_ngt_f32_e64 s[0:1], s2, v33
	v_cndmask_b32_e64 v40, 0, v40, s[0:1]
	v_cmp_nlt_f32_e64 s[0:1], s3, v33
	v_cndmask_b32_e64 v33, v59, v40, s[0:1]
	v_ldexp_f32 v40, v41, v44
	v_cmp_ngt_f32_e64 s[0:1], s2, v32
	v_cndmask_b32_e64 v40, 0, v40, s[0:1]
	v_cmp_nlt_f32_e64 s[0:1], s3, v32
	v_cndmask_b32_e64 v32, v59, v40, s[0:1]
	v_pk_mul_f32 v[40:41], v[58:59], v[2:3] op_sel_hi:[0,1]
	v_pk_mul_f32 v[24:25], v[60:61], v[24:25] op_sel_hi:[0,1]
	v_mul_f32_e32 v44, 0x3fb8aa3b, v41
	v_fma_f32 v45, v41, s7, -v44
	v_rndne_f32_e32 v66, v44
	v_pk_fma_f32 v[32:33], v[46:47], v[32:33], v[24:25]
	v_fmac_f32_e32 v45, 0x32a5705f, v41
	v_sub_f32_e32 v44, v44, v66
	v_fmac_f32_e32 v61, v42, v32
	v_mul_f32_e32 v25, 0x3fb8aa3b, v40
	v_add_f32_e32 v44, v44, v45
	v_fmac_f32_e32 v61, v43, v33
	v_fma_f32 v42, v40, s7, -v25
	v_rndne_f32_e32 v43, v25
	v_exp_f32_e32 v44, v44
	v_cvt_i32_f32_e32 v45, v66
	v_fmac_f32_e32 v42, 0x32a5705f, v40
	v_sub_f32_e32 v25, v25, v43
	v_add_f32_e32 v25, v25, v42
	v_exp_f32_e32 v42, v25
	v_cvt_i32_f32_e32 v43, v43
	v_ldexp_f32 v24, v44, v45
	v_cmp_ngt_f32_e64 s[0:1], s2, v41
	v_cndmask_b32_e64 v24, 0, v24, s[0:1]
	v_cmp_nlt_f32_e64 s[0:1], s3, v41
	v_cndmask_b32_e64 v25, v59, v24, s[0:1]
	v_ldexp_f32 v24, v42, v43
	v_cmp_ngt_f32_e64 s[0:1], s2, v40
	v_cndmask_b32_e64 v24, 0, v24, s[0:1]
	v_cmp_nlt_f32_e64 s[0:1], s3, v40
	v_pk_mul_f32 v[40:41], v[58:59], v[4:5] op_sel_hi:[0,1]
	v_mul_f32_e32 v42, 0x3fb8aa3b, v41
	v_fma_f32 v43, v41, s7, -v42
	v_rndne_f32_e32 v44, v42
	v_fmac_f32_e32 v43, 0x32a5705f, v41
	v_sub_f32_e32 v42, v42, v44
	v_add_f32_e32 v42, v42, v43
	v_exp_f32_e32 v42, v42
	v_cvt_i32_f32_e32 v43, v44
	v_cndmask_b32_e64 v24, v59, v24, s[0:1]
	v_pk_mul_f32 v[18:19], v[60:61], v[18:19] op_sel_hi:[0,1]
	v_pk_fma_f32 v[24:25], v[48:49], v[24:25], v[18:19]
	v_mul_f32_e32 v19, 0x3fb8aa3b, v40
	v_ldexp_f32 v18, v42, v43
	v_fma_f32 v42, v40, s7, -v19
	v_rndne_f32_e32 v43, v19
	v_fmac_f32_e32 v42, 0x32a5705f, v40
	v_sub_f32_e32 v19, v19, v43
	v_add_f32_e32 v19, v19, v42
	v_exp_f32_e32 v42, v19
	v_cvt_i32_f32_e32 v43, v43
	v_cmp_ngt_f32_e64 s[0:1], s2, v41
	v_cndmask_b32_e64 v18, 0, v18, s[0:1]
	v_cmp_nlt_f32_e64 s[0:1], s3, v41
	s_waitcnt lgkmcnt(0)
	v_fmac_f32_e32 v61, v62, v24
	v_cndmask_b32_e64 v19, v59, v18, s[0:1]
	v_ldexp_f32 v18, v42, v43
	v_cmp_ngt_f32_e64 s[0:1], s2, v40
	v_fmac_f32_e32 v61, v63, v25
	v_cndmask_b32_e64 v18, 0, v18, s[0:1]
	v_cmp_nlt_f32_e64 s[0:1], s3, v40
	v_cndmask_b32_e64 v18, v59, v18, s[0:1]
	v_pk_mul_f32 v[20:21], v[60:61], v[20:21] op_sel_hi:[0,1]
	v_pk_fma_f32 v[20:21], v[50:51], v[18:19], v[20:21]
	v_fmac_f32_e32 v61, v64, v20
	v_fmac_f32_e32 v61, v65, v21
	v_mad_i64_i32 v[18:19], s[0:1], s20, 20, v[38:39]
	global_store_dword v[18:19], v61, off
	s_barrier
	s_and_saveexec_b64 s[0:1], vcc
	s_cbranch_execz .LBB8_26
; %bb.25:
	v_mad_i64_i32 v[0:1], s[2:3], s8, 24, v[0:1]
	global_load_dword v38, v[0:1], off
	v_mad_i64_i32 v[0:1], s[2:3], s10, 24, v[36:37]
	global_load_dword v0, v[0:1], off
	s_waitcnt vmcnt(1)
	ds_write_b32 v68, v38
	s_waitcnt vmcnt(0)
	ds_write_b32 v69, v0
.LBB8_26:
	s_or_b64 exec, exec, s[0:1]
	v_mov_b32_e32 v1, s17
	v_add_co_u32_e32 v0, vcc, s16, v54
	v_addc_co_u32_e32 v1, vcc, v55, v1, vcc
	s_waitcnt lgkmcnt(0)
	s_barrier
	global_load_dword v48, v[0:1], off
	s_mov_b32 s0, 0x41a00000
	s_waitcnt vmcnt(0)
	v_cmp_ge_f32_e32 vcc, s0, v48
	s_and_saveexec_b64 s[2:3], vcc
	s_cbranch_execz .LBB8_28
; %bb.27:
	v_mul_f32_e32 v0, 0x3fb8aa3b, v48
	s_mov_b32 s0, 0x3fb8aa3b
	v_rndne_f32_e32 v1, v0
	v_sub_f32_e32 v36, v0, v1
	v_fma_f32 v0, v48, s0, -v0
	v_fmac_f32_e32 v0, 0x32a5705f, v48
	v_add_f32_e32 v0, v36, v0
	v_exp_f32_e32 v0, v0
	v_cvt_i32_f32_e32 v1, v1
	s_mov_b32 s0, 0xc2ce8ed0
	v_cmp_ngt_f32_e32 vcc, s0, v48
	s_mov_b32 s0, 0x42b17218
	v_ldexp_f32 v0, v0, v1
	v_cndmask_b32_e32 v0, 0, v0, vcc
	v_mov_b32_e32 v1, 0x7f800000
	v_cmp_nlt_f32_e32 vcc, s0, v48
	v_cndmask_b32_e32 v50, v1, v0, vcc
	v_add_f32_e32 v36, 1.0, v50
	v_add_f32_e32 v0, -1.0, v36
	v_sub_f32_e32 v1, v0, v36
	v_add_f32_e32 v1, 1.0, v1
	v_sub_f32_e32 v0, v50, v0
	v_add_f32_e32 v37, v0, v1
	v_frexp_mant_f32_e32 v38, v36
	s_mov_b32 s0, 0x3f2aaaab
	v_cvt_f64_f32_e32 v[0:1], v36
	v_frexp_exp_i32_f64_e32 v0, v[0:1]
	v_cmp_gt_f32_e32 vcc, s0, v38
	v_subbrev_co_u32_e32 v42, vcc, 0, v0, vcc
	v_sub_u32_e32 v0, 0, v42
	v_ldexp_f32 v1, v36, v0
	v_add_f32_e32 v36, -1.0, v1
	v_add_f32_e32 v38, 1.0, v1
	v_ldexp_f32 v0, v37, v0
	v_add_f32_e32 v37, 1.0, v36
	v_add_f32_e32 v39, -1.0, v38
	v_sub_f32_e32 v37, v1, v37
	v_sub_f32_e32 v1, v1, v39
	v_add_f32_e32 v37, v0, v37
	v_add_f32_e32 v0, v0, v1
	;; [unrolled: 1-line block ×3, first 2 shown]
	v_rcp_f32_e32 v45, v43
	v_sub_f32_e32 v1, v38, v43
	v_add_f32_e32 v44, v0, v1
	v_add_f32_e32 v1, v36, v37
	v_mul_f32_e32 v47, v1, v45
	v_sub_f32_e32 v0, v36, v1
	v_mul_f32_e32 v36, v43, v47
	v_fma_f32 v38, v47, v43, -v36
	v_fmac_f32_e32 v38, v47, v44
	v_add_f32_e32 v46, v37, v0
	v_add_f32_e32 v0, v36, v38
	v_sub_f32_e32 v37, v1, v0
	v_pk_add_f32 v[40:41], v[0:1], v[36:37] neg_lo:[0,1] neg_hi:[0,1]
	v_mov_b32_e32 v39, v0
	v_pk_add_f32 v[0:1], v[40:41], v[38:39] neg_lo:[0,1] neg_hi:[0,1]
	v_add_f32_e32 v1, v46, v1
	v_add_f32_e32 v0, v0, v1
	;; [unrolled: 1-line block ×3, first 2 shown]
	v_mul_f32_e32 v46, v45, v1
	v_mul_f32_e32 v36, v43, v46
	v_fma_f32 v38, v46, v43, -v36
	v_fmac_f32_e32 v38, v46, v44
	v_sub_f32_e32 v37, v37, v1
	v_add_f32_e32 v43, v0, v37
	v_add_f32_e32 v0, v36, v38
	v_sub_f32_e32 v37, v1, v0
	v_pk_add_f32 v[40:41], v[0:1], v[36:37] neg_lo:[0,1] neg_hi:[0,1]
	v_mov_b32_e32 v39, v0
	v_pk_add_f32 v[0:1], v[40:41], v[38:39] neg_lo:[0,1] neg_hi:[0,1]
	v_add_f32_e32 v1, v43, v1
	v_add_f32_e32 v0, v0, v1
	v_add_f32_e32 v0, v37, v0
	v_add_f32_e32 v37, v47, v46
	v_sub_f32_e32 v1, v37, v47
	v_mul_f32_e32 v0, v45, v0
	v_sub_f32_e32 v1, v46, v1
	v_add_f32_e32 v0, v1, v0
	v_add_f32_e32 v38, v37, v0
	v_mul_f32_e32 v40, v38, v38
	v_mov_b32_e32 v36, 0x3ecc95a3
	v_fmac_f32_e32 v36, 0x3e9b6dac, v40
	v_mov_b32_e32 v1, 0x3f2aaada
	v_fmac_f32_e32 v1, v40, v36
	v_cvt_f32_i32_e32 v36, v42
	v_sub_f32_e32 v37, v38, v37
	v_sub_f32_e32 v0, v0, v37
	v_ldexp_f32 v41, v0, 1
	v_mul_f32_e32 v37, v38, v40
	v_mov_b32_e32 v0, 0x3f317218
	s_mov_b32 s0, 0x3f317218
	v_pk_mul_f32 v[0:1], v[36:37], v[0:1]
	v_ldexp_f32 v39, v38, 1
	v_fma_f32 v38, v36, s0, -v0
	v_fmac_f32_e32 v38, 0xb102e308, v36
	v_pk_add_f32 v[36:37], v[0:1], v[38:39]
	v_sub_f32_e32 v39, v37, v39
	v_sub_f32_e32 v39, v1, v39
	v_add_f32_e32 v41, v41, v39
	v_mov_b32_e32 v40, v0
	v_pk_add_f32 v[0:1], v[36:37], v[0:1] neg_lo:[0,1] neg_hi:[0,1]
	v_pk_add_f32 v[42:43], v[36:37], v[40:41]
	v_mov_b32_e32 v1, v43
	v_mov_b32_e32 v39, v36
	v_pk_add_f32 v[44:45], v[38:39], v[0:1] neg_lo:[0,1] neg_hi:[0,1]
	v_pk_add_f32 v[0:1], v[38:39], v[0:1]
	v_mov_b32_e32 v38, v1
	v_pk_add_f32 v[46:47], v[38:39], v[36:37] neg_lo:[0,1] neg_hi:[0,1]
	v_mov_b32_e32 v39, v46
	v_pk_add_f32 v[48:49], v[42:43], v[38:39] neg_lo:[0,1] neg_hi:[0,1]
	v_mov_b32_e32 v0, v43
	v_mov_b32_e32 v42, v37
	;; [unrolled: 1-line block ×4, first 2 shown]
	v_pk_add_f32 v[0:1], v[0:1], v[42:43] neg_lo:[0,1] neg_hi:[0,1]
	v_mov_b32_e32 v40, v41
	v_mov_b32_e32 v41, v36
	v_pk_add_f32 v[0:1], v[40:41], v[0:1] neg_lo:[0,1] neg_hi:[0,1]
	v_mov_b32_e32 v48, v44
	v_pk_add_f32 v[36:37], v[48:49], v[0:1]
	v_mov_b32_e32 v40, v37
	v_pk_add_f32 v[40:41], v[36:37], v[40:41]
	v_pk_add_f32 v[38:39], v[38:39], v[40:41]
	v_mov_b32_e32 v37, v38
	v_pk_add_f32 v[42:43], v[36:37], v[44:45] neg_lo:[0,1] neg_hi:[0,1]
	v_mov_b32_e32 v1, v40
	v_sub_f32_e32 v36, v36, v42
	v_pk_add_f32 v[0:1], v[0:1], v[42:43] neg_lo:[0,1] neg_hi:[0,1]
	v_sub_f32_e32 v36, v44, v36
	s_mov_b32 s1, 0x7f800000
	v_add_f32_e32 v0, v0, v36
	s_mov_b32 s0, 0x33800000
	v_add_f32_e32 v0, v0, v1
	v_cmp_eq_f32_e32 vcc, s1, v50
	v_cmp_gt_f32_e64 s[0:1], s0, v50
	v_add_f32_e32 v0, v38, v0
	s_or_b64 vcc, s[0:1], vcc
	v_cndmask_b32_e32 v48, v0, v50, vcc
.LBB8_28:
	s_or_b64 exec, exec, s[2:3]
	v_mov_b32_e32 v1, s19
	v_add_co_u32_e32 v0, vcc, s18, v52
	v_addc_co_u32_e32 v1, vcc, v53, v1, vcc
	global_load_dword v49, v[0:1], off
	s_add_u32 s3, s22, s12
	s_mov_b32 s2, 0x3fb8aa3b
	v_add_co_u32_e32 v38, vcc, s4, v18
	s_mul_i32 s6, s6, s25
	v_mov_b32_e32 v66, 0
	s_mov_b32 s0, 0xc2ce8ed0
	s_mov_b32 s1, 0x42b17218
	v_mov_b32_e32 v67, 0x7f800000
	s_waitcnt vmcnt(0)
	v_pk_mul_f32 v[62:63], v[48:49], v[14:15] op_sel_hi:[0,1]
	v_pk_mul_f32 v[42:43], v[48:49], v[8:9] op_sel_hi:[0,1]
	v_mov_b32_e32 v8, s5
	v_mul_f32_e32 v18, 0x3fb8aa3b, v63
	s_addc_u32 s5, s23, s13
	v_addc_co_u32_e32 v39, vcc, v19, v8, vcc
	v_mul_f32_e32 v19, 0x3fb8aa3b, v62
	v_fma_f32 v68, v63, s2, -v18
	v_rndne_f32_e32 v70, v18
	s_add_u32 s3, s3, s6
	v_fma_f32 v69, v62, s2, -v19
	v_rndne_f32_e32 v71, v19
	v_fmac_f32_e32 v68, 0x32a5705f, v63
	v_sub_f32_e32 v18, v18, v70
	s_addc_u32 s4, s5, 0
	v_fmac_f32_e32 v69, 0x32a5705f, v62
	v_sub_f32_e32 v19, v19, v71
	v_add_f32_e32 v18, v18, v68
	v_cvt_i32_f32_e32 v70, v70
	s_add_u32 s3, s3, s34
	v_add_f32_e32 v19, v19, v69
	v_exp_f32_e32 v18, v18
	v_cvt_i32_f32_e32 v71, v71
	s_addc_u32 s4, s4, s33
	v_exp_f32_e32 v19, v19
	v_pk_mul_f32 v[16:17], v[48:49], v[16:17] op_sel_hi:[0,1]
	v_mov_b32_e32 v68, s4
	v_add_co_u32_e32 v34, vcc, s3, v34
	v_mul_f32_e32 v64, 0x3fb8aa3b, v17
	v_addc_co_u32_e32 v35, vcc, v68, v35, vcc
	v_pk_mul_f32 v[50:51], v[48:49], v[10:11] op_sel_hi:[0,1]
	v_pk_mul_f32 v[46:47], v[48:49], v[12:13] op_sel_hi:[0,1]
	;; [unrolled: 1-line block ×5, first 2 shown]
	ds_read_b128 v[52:55], v66 offset:64
	ds_read_b128 v[12:15], v66 offset:80
	ds_read_b128 v[4:7], v66 offset:96
	ds_read_b128 v[0:3], v66 offset:112
	ds_read_b128 v[8:11], v66
	ds_read_b128 v[58:61], v66 offset:16
	v_fma_f32 v72, v17, s2, -v64
	v_rndne_f32_e32 v73, v64
	v_ldexp_f32 v18, v18, v70
	v_cmp_ngt_f32_e32 vcc, s0, v63
	v_mul_f32_e32 v65, 0x3fb8aa3b, v16
	v_fmac_f32_e32 v72, 0x32a5705f, v17
	v_sub_f32_e32 v64, v64, v73
	v_ldexp_f32 v19, v19, v71
	v_cndmask_b32_e32 v18, 0, v18, vcc
	v_cmp_ngt_f32_e32 vcc, s0, v62
	v_fma_f32 v74, v16, s2, -v65
	v_rndne_f32_e32 v75, v65
	v_add_f32_e32 v64, v64, v72
	v_cndmask_b32_e32 v68, 0, v19, vcc
	v_cmp_nlt_f32_e32 vcc, s1, v63
	v_cvt_i32_f32_e32 v73, v73
	v_fmac_f32_e32 v74, 0x32a5705f, v16
	v_sub_f32_e32 v65, v65, v75
	v_exp_f32_e32 v64, v64
	v_cndmask_b32_e32 v19, v67, v18, vcc
	v_cmp_nlt_f32_e32 vcc, s1, v62
	v_mul_f32_e32 v48, v48, v49
	v_add_f32_e32 v65, v65, v74
	v_cndmask_b32_e32 v18, v67, v68, vcc
	s_waitcnt lgkmcnt(1)
	v_pk_mul_f32 v[8:9], v[48:49], v[8:9] op_sel_hi:[0,1]
	v_pk_fma_f32 v[8:9], v[56:57], v[18:19], v[8:9]
	v_exp_f32_e32 v18, v65
	v_cvt_i32_f32_e32 v19, v75
	v_ldexp_f32 v49, v64, v73
	v_cmp_ngt_f32_e32 vcc, s0, v17
	v_cndmask_b32_e32 v49, 0, v49, vcc
	v_cmp_nlt_f32_e32 vcc, s1, v17
	v_ldexp_f32 v18, v18, v19
	v_cndmask_b32_e32 v57, v67, v49, vcc
	v_cmp_ngt_f32_e32 vcc, s0, v16
	v_cndmask_b32_e32 v17, 0, v18, vcc
	v_cmp_nlt_f32_e32 vcc, s1, v16
	v_cndmask_b32_e32 v56, v67, v17, vcc
	v_pk_mul_f32 v[10:11], v[48:49], v[10:11] op_sel_hi:[0,1]
	v_pk_fma_f32 v[10:11], v[30:31], v[56:57], v[10:11]
	v_mul_f32_e32 v30, 0x3fb8aa3b, v51
	v_fma_f32 v49, v52, v8, 0
	v_fma_f32 v31, v51, s2, -v30
	v_rndne_f32_e32 v52, v30
	v_fmac_f32_e32 v31, 0x32a5705f, v51
	v_sub_f32_e32 v30, v30, v52
	v_add_f32_e32 v30, v30, v31
	v_exp_f32_e32 v30, v30
	v_cvt_i32_f32_e32 v31, v52
	v_fmac_f32_e32 v49, v53, v9
	v_cmp_ngt_f32_e32 vcc, s0, v51
	v_fmac_f32_e32 v49, v54, v10
	v_ldexp_f32 v30, v30, v31
	v_mul_f32_e32 v31, 0x3fb8aa3b, v50
	v_fma_f32 v52, v50, s2, -v31
	v_rndne_f32_e32 v53, v31
	v_fmac_f32_e32 v52, 0x32a5705f, v50
	v_sub_f32_e32 v31, v31, v53
	v_add_f32_e32 v31, v31, v52
	v_exp_f32_e32 v52, v31
	v_cvt_i32_f32_e32 v53, v53
	v_cndmask_b32_e32 v30, 0, v30, vcc
	v_cmp_nlt_f32_e32 vcc, s1, v51
	v_cndmask_b32_e32 v31, v67, v30, vcc
	v_ldexp_f32 v30, v52, v53
	v_cmp_ngt_f32_e32 vcc, s0, v50
	v_fmac_f32_e32 v49, v55, v11
	v_cndmask_b32_e32 v30, 0, v30, vcc
	v_cmp_nlt_f32_e32 vcc, s1, v50
	v_cndmask_b32_e32 v30, v67, v30, vcc
	s_waitcnt lgkmcnt(0)
	v_pk_mul_f32 v[50:51], v[48:49], v[58:59] op_sel_hi:[0,1]
	v_mul_f32_e32 v52, 0x3fb8aa3b, v47
	v_pk_fma_f32 v[26:27], v[26:27], v[30:31], v[50:51]
	v_fma_f32 v53, v47, s2, -v52
	v_rndne_f32_e32 v54, v52
	v_fmac_f32_e32 v49, v12, v26
	v_fmac_f32_e32 v53, 0x32a5705f, v47
	v_sub_f32_e32 v52, v52, v54
	v_fmac_f32_e32 v49, v13, v27
	v_mul_f32_e32 v13, 0x3fb8aa3b, v46
	v_add_f32_e32 v52, v52, v53
	v_fma_f32 v30, v46, s2, -v13
	v_rndne_f32_e32 v31, v13
	v_exp_f32_e32 v52, v52
	v_cvt_i32_f32_e32 v53, v54
	v_fmac_f32_e32 v30, 0x32a5705f, v46
	v_sub_f32_e32 v13, v13, v31
	v_add_f32_e32 v13, v13, v30
	v_exp_f32_e32 v30, v13
	v_cvt_i32_f32_e32 v31, v31
	v_ldexp_f32 v12, v52, v53
	v_cmp_ngt_f32_e32 vcc, s0, v47
	v_cndmask_b32_e32 v12, 0, v12, vcc
	v_cmp_nlt_f32_e32 vcc, s1, v47
	v_cndmask_b32_e32 v13, v67, v12, vcc
	v_ldexp_f32 v12, v30, v31
	v_cmp_ngt_f32_e32 vcc, s0, v46
	v_cndmask_b32_e32 v12, 0, v12, vcc
	v_cmp_nlt_f32_e32 vcc, s1, v46
	v_cndmask_b32_e32 v12, v67, v12, vcc
	v_pk_mul_f32 v[30:31], v[48:49], v[60:61] op_sel_hi:[0,1]
	v_mul_f32_e32 v46, 0x3fb8aa3b, v45
	v_fma_f32 v47, v45, s2, -v46
	v_rndne_f32_e32 v50, v46
	v_pk_fma_f32 v[28:29], v[28:29], v[12:13], v[30:31]
	v_fmac_f32_e32 v47, 0x32a5705f, v45
	v_sub_f32_e32 v46, v46, v50
	v_fmac_f32_e32 v49, v14, v28
	v_mul_f32_e32 v13, 0x3fb8aa3b, v44
	v_add_f32_e32 v46, v46, v47
	v_fmac_f32_e32 v49, v15, v29
	v_fma_f32 v14, v44, s2, -v13
	v_rndne_f32_e32 v15, v13
	v_exp_f32_e32 v46, v46
	v_cvt_i32_f32_e32 v47, v50
	v_fmac_f32_e32 v14, 0x32a5705f, v44
	v_sub_f32_e32 v13, v13, v15
	v_add_f32_e32 v13, v13, v14
	v_exp_f32_e32 v14, v13
	v_cvt_i32_f32_e32 v15, v15
	ds_read_b128 v[62:65], v66 offset:32
	ds_read_b128 v[16:19], v66 offset:48
	v_ldexp_f32 v12, v46, v47
	v_cmp_ngt_f32_e32 vcc, s0, v45
	v_cndmask_b32_e32 v12, 0, v12, vcc
	v_cmp_nlt_f32_e32 vcc, s1, v45
	v_cndmask_b32_e32 v13, v67, v12, vcc
	v_ldexp_f32 v12, v14, v15
	v_cmp_ngt_f32_e32 vcc, s0, v44
	v_cndmask_b32_e32 v12, 0, v12, vcc
	v_cmp_nlt_f32_e32 vcc, s1, v44
	v_cndmask_b32_e32 v12, v67, v12, vcc
	s_waitcnt lgkmcnt(1)
	v_pk_mul_f32 v[14:15], v[48:49], v[62:63] op_sel_hi:[0,1]
	v_mul_f32_e32 v30, 0x3fb8aa3b, v43
	v_pk_fma_f32 v[12:13], v[22:23], v[12:13], v[14:15]
	v_fma_f32 v31, v43, s2, -v30
	v_rndne_f32_e32 v44, v30
	v_fmac_f32_e32 v49, v4, v12
	v_fmac_f32_e32 v31, 0x32a5705f, v43
	v_sub_f32_e32 v30, v30, v44
	v_fmac_f32_e32 v49, v5, v13
	v_mul_f32_e32 v5, 0x3fb8aa3b, v42
	v_add_f32_e32 v30, v30, v31
	v_fma_f32 v14, v42, s2, -v5
	v_rndne_f32_e32 v15, v5
	v_exp_f32_e32 v30, v30
	v_cvt_i32_f32_e32 v31, v44
	v_fmac_f32_e32 v14, 0x32a5705f, v42
	v_sub_f32_e32 v5, v5, v15
	v_add_f32_e32 v5, v5, v14
	v_exp_f32_e32 v14, v5
	v_cvt_i32_f32_e32 v15, v15
	v_ldexp_f32 v4, v30, v31
	v_cmp_ngt_f32_e32 vcc, s0, v43
	v_cndmask_b32_e32 v4, 0, v4, vcc
	v_cmp_nlt_f32_e32 vcc, s1, v43
	v_cndmask_b32_e32 v5, v67, v4, vcc
	v_ldexp_f32 v4, v14, v15
	v_cmp_ngt_f32_e32 vcc, s0, v42
	v_cndmask_b32_e32 v4, 0, v4, vcc
	v_cmp_nlt_f32_e32 vcc, s1, v42
	v_cndmask_b32_e32 v4, v67, v4, vcc
	v_pk_mul_f32 v[14:15], v[48:49], v[64:65] op_sel_hi:[0,1]
	v_mul_f32_e32 v22, 0x3fb8aa3b, v41
	v_fma_f32 v23, v41, s2, -v22
	v_rndne_f32_e32 v30, v22
	v_pk_fma_f32 v[14:15], v[32:33], v[4:5], v[14:15]
	v_fmac_f32_e32 v23, 0x32a5705f, v41
	v_sub_f32_e32 v22, v22, v30
	v_fmac_f32_e32 v49, v6, v14
	v_mul_f32_e32 v5, 0x3fb8aa3b, v40
	v_add_f32_e32 v22, v22, v23
	v_fmac_f32_e32 v49, v7, v15
	v_fma_f32 v6, v40, s2, -v5
	v_rndne_f32_e32 v7, v5
	v_exp_f32_e32 v22, v22
	v_cvt_i32_f32_e32 v23, v30
	v_fmac_f32_e32 v6, 0x32a5705f, v40
	v_sub_f32_e32 v5, v5, v7
	v_add_f32_e32 v5, v5, v6
	v_exp_f32_e32 v6, v5
	v_cvt_i32_f32_e32 v7, v7
	v_ldexp_f32 v4, v22, v23
	v_cmp_ngt_f32_e32 vcc, s0, v41
	v_cndmask_b32_e32 v4, 0, v4, vcc
	v_cmp_nlt_f32_e32 vcc, s1, v41
	v_cndmask_b32_e32 v5, v67, v4, vcc
	v_ldexp_f32 v4, v6, v7
	v_cmp_ngt_f32_e32 vcc, s0, v40
	v_cndmask_b32_e32 v4, 0, v4, vcc
	v_cmp_nlt_f32_e32 vcc, s1, v40
	v_cndmask_b32_e32 v4, v67, v4, vcc
	s_waitcnt lgkmcnt(0)
	v_pk_mul_f32 v[6:7], v[48:49], v[16:17] op_sel_hi:[0,1]
	v_mul_f32_e32 v16, 0x3fb8aa3b, v37
	v_pk_fma_f32 v[4:5], v[24:25], v[4:5], v[6:7]
	v_fma_f32 v17, v37, s2, -v16
	v_rndne_f32_e32 v22, v16
	v_fmac_f32_e32 v49, v0, v4
	v_fmac_f32_e32 v17, 0x32a5705f, v37
	v_sub_f32_e32 v16, v16, v22
	v_fmac_f32_e32 v49, v1, v5
	v_mul_f32_e32 v1, 0x3fb8aa3b, v36
	v_add_f32_e32 v16, v16, v17
	v_fma_f32 v6, v36, s2, -v1
	v_rndne_f32_e32 v7, v1
	v_exp_f32_e32 v16, v16
	v_cvt_i32_f32_e32 v17, v22
	v_fmac_f32_e32 v6, 0x32a5705f, v36
	v_sub_f32_e32 v1, v1, v7
	v_add_f32_e32 v1, v1, v6
	v_exp_f32_e32 v6, v1
	v_cvt_i32_f32_e32 v7, v7
	v_ldexp_f32 v0, v16, v17
	v_cmp_ngt_f32_e32 vcc, s0, v37
	v_cndmask_b32_e32 v0, 0, v0, vcc
	v_cmp_nlt_f32_e32 vcc, s1, v37
	v_cndmask_b32_e32 v1, v67, v0, vcc
	v_ldexp_f32 v0, v6, v7
	v_cmp_ngt_f32_e32 vcc, s0, v36
	v_cndmask_b32_e32 v0, 0, v0, vcc
	v_cmp_nlt_f32_e32 vcc, s1, v36
	v_cndmask_b32_e32 v0, v67, v0, vcc
	v_pk_mul_f32 v[6:7], v[48:49], v[18:19] op_sel_hi:[0,1]
	v_pk_fma_f32 v[6:7], v[20:21], v[0:1], v[6:7]
	v_fmac_f32_e32 v49, v2, v6
	v_fmac_f32_e32 v49, v3, v7
	global_store_dword v[38:39], v49, off
	s_barrier
	global_store_dwordx4 v[34:35], v[8:11], off
	global_store_dwordx4 v[34:35], v[26:29], off offset:16
	global_store_dwordx4 v[34:35], v[12:15], off offset:32
	;; [unrolled: 1-line block ×3, first 2 shown]
	s_endpgm
	.section	.rodata,"a",@progbits
	.p2align	6, 0x0
	.amdhsa_kernel _Z12ssm_scan_f32ILm128ELm16ELm7EEvPKfS1_S1_S1_S1_S1_PKiPfiiiiiiiiiiilll
		.amdhsa_group_segment_fixed_size 128
		.amdhsa_private_segment_fixed_size 0
		.amdhsa_kernarg_size 136
		.amdhsa_user_sgpr_count 6
		.amdhsa_user_sgpr_private_segment_buffer 1
		.amdhsa_user_sgpr_dispatch_ptr 0
		.amdhsa_user_sgpr_queue_ptr 0
		.amdhsa_user_sgpr_kernarg_segment_ptr 1
		.amdhsa_user_sgpr_dispatch_id 0
		.amdhsa_user_sgpr_flat_scratch_init 0
		.amdhsa_user_sgpr_kernarg_preload_length 0
		.amdhsa_user_sgpr_kernarg_preload_offset 0
		.amdhsa_user_sgpr_private_segment_size 0
		.amdhsa_uses_dynamic_stack 0
		.amdhsa_system_sgpr_private_segment_wavefront_offset 0
		.amdhsa_system_sgpr_workgroup_id_x 1
		.amdhsa_system_sgpr_workgroup_id_y 1
		.amdhsa_system_sgpr_workgroup_id_z 0
		.amdhsa_system_sgpr_workgroup_info 0
		.amdhsa_system_vgpr_workitem_id 0
		.amdhsa_next_free_vgpr 95
		.amdhsa_next_free_sgpr 40
		.amdhsa_accum_offset 96
		.amdhsa_reserve_vcc 1
		.amdhsa_reserve_flat_scratch 0
		.amdhsa_float_round_mode_32 0
		.amdhsa_float_round_mode_16_64 0
		.amdhsa_float_denorm_mode_32 3
		.amdhsa_float_denorm_mode_16_64 3
		.amdhsa_dx10_clamp 1
		.amdhsa_ieee_mode 1
		.amdhsa_fp16_overflow 0
		.amdhsa_tg_split 0
		.amdhsa_exception_fp_ieee_invalid_op 0
		.amdhsa_exception_fp_denorm_src 0
		.amdhsa_exception_fp_ieee_div_zero 0
		.amdhsa_exception_fp_ieee_overflow 0
		.amdhsa_exception_fp_ieee_underflow 0
		.amdhsa_exception_fp_ieee_inexact 0
		.amdhsa_exception_int_div_zero 0
	.end_amdhsa_kernel
	.section	.text._Z12ssm_scan_f32ILm128ELm16ELm7EEvPKfS1_S1_S1_S1_S1_PKiPfiiiiiiiiiiilll,"axG",@progbits,_Z12ssm_scan_f32ILm128ELm16ELm7EEvPKfS1_S1_S1_S1_S1_PKiPfiiiiiiiiiiilll,comdat
.Lfunc_end8:
	.size	_Z12ssm_scan_f32ILm128ELm16ELm7EEvPKfS1_S1_S1_S1_S1_PKiPfiiiiiiiiiiilll, .Lfunc_end8-_Z12ssm_scan_f32ILm128ELm16ELm7EEvPKfS1_S1_S1_S1_S1_PKiPfiiiiiiiiiiilll
                                        ; -- End function
	.section	.AMDGPU.csdata,"",@progbits
; Kernel info:
; codeLenInByte = 19148
; NumSgprs: 44
; NumVgprs: 95
; NumAgprs: 0
; TotalNumVgprs: 95
; ScratchSize: 0
; MemoryBound: 0
; FloatMode: 240
; IeeeMode: 1
; LDSByteSize: 128 bytes/workgroup (compile time only)
; SGPRBlocks: 5
; VGPRBlocks: 11
; NumSGPRsForWavesPerEU: 44
; NumVGPRsForWavesPerEU: 95
; AccumOffset: 96
; Occupancy: 5
; WaveLimiterHint : 1
; COMPUTE_PGM_RSRC2:SCRATCH_EN: 0
; COMPUTE_PGM_RSRC2:USER_SGPR: 6
; COMPUTE_PGM_RSRC2:TRAP_HANDLER: 0
; COMPUTE_PGM_RSRC2:TGID_X_EN: 1
; COMPUTE_PGM_RSRC2:TGID_Y_EN: 1
; COMPUTE_PGM_RSRC2:TGID_Z_EN: 0
; COMPUTE_PGM_RSRC2:TIDIG_COMP_CNT: 0
; COMPUTE_PGM_RSRC3_GFX90A:ACCUM_OFFSET: 23
; COMPUTE_PGM_RSRC3_GFX90A:TG_SPLIT: 0
	.section	.text._Z12ssm_scan_f32ILm128ELm16ELm8EEvPKfS1_S1_S1_S1_S1_PKiPfiiiiiiiiiiilll,"axG",@progbits,_Z12ssm_scan_f32ILm128ELm16ELm8EEvPKfS1_S1_S1_S1_S1_PKiPfiiiiiiiiiiilll,comdat
	.protected	_Z12ssm_scan_f32ILm128ELm16ELm8EEvPKfS1_S1_S1_S1_S1_PKiPfiiiiiiiiiiilll ; -- Begin function _Z12ssm_scan_f32ILm128ELm16ELm8EEvPKfS1_S1_S1_S1_S1_PKiPfiiiiiiiiiiilll
	.globl	_Z12ssm_scan_f32ILm128ELm16ELm8EEvPKfS1_S1_S1_S1_S1_PKiPfiiiiiiiiiiilll
	.p2align	8
	.type	_Z12ssm_scan_f32ILm128ELm16ELm8EEvPKfS1_S1_S1_S1_S1_PKiPfiiiiiiiiiiilll,@function
_Z12ssm_scan_f32ILm128ELm16ELm8EEvPKfS1_S1_S1_S1_S1_PKiPfiiiiiiiiiiilll: ; @_Z12ssm_scan_f32ILm128ELm16ELm8EEvPKfS1_S1_S1_S1_S1_PKiPfiiiiiiiiiiilll
; %bb.0:
	s_load_dwordx16 s[8:23], s[4:5], 0x0
	s_load_dwordx8 s[24:31], s[4:5], 0x40
	s_mov_b32 s2, s7
	s_mov_b32 s7, 0
	s_lshl_b64 s[0:1], s[6:7], 2
	s_waitcnt lgkmcnt(0)
	s_add_u32 s0, s20, s0
	s_addc_u32 s1, s21, s1
	s_load_dword s0, s[0:1], 0x0
	v_mov_b32_e32 v3, 0
	s_load_dwordx4 s[36:39], s[4:5], 0x60
	v_lshlrev_b32_e32 v63, 2, v0
	v_add_u32_e32 v64, 64, v63
	s_waitcnt lgkmcnt(0)
	s_mul_i32 s0, s0, s25
	s_ashr_i32 s1, s0, 31
	s_add_u32 s0, s8, s0
	s_addc_u32 s1, s9, s1
	s_lshl_b32 s3, s2, 7
	s_ashr_i32 s8, s24, 31
	s_mul_i32 s8, s3, s8
	s_mul_hi_u32 s9, s3, s24
	s_add_i32 s8, s9, s8
	s_lshr_b32 s9, s2, 25
	s_mul_i32 s20, s9, s24
	s_add_i32 s33, s8, s20
	s_mul_i32 s34, s3, s24
	s_add_u32 s0, s0, s34
	s_addc_u32 s1, s1, s33
	s_ashr_i32 s8, s30, 31
	s_mul_i32 s8, s3, s8
	s_mul_hi_u32 s20, s3, s30
	s_add_i32 s8, s20, s8
	s_mul_i32 s9, s9, s30
	s_add_i32 s8, s8, s9
	s_mul_i32 s3, s3, s30
	s_add_u32 s3, s14, s3
	s_addc_u32 s8, s15, s8
	s_ashr_i32 s14, s30, 2
	v_mul_lo_u32 v2, s14, v0
	s_ashr_i32 s9, s24, 2
	v_lshlrev_b64 v[4:5], 2, v[2:3]
	v_mov_b32_e32 v1, s8
	v_add_co_u32_e32 v36, vcc, s3, v4
	v_mul_lo_u32 v2, s9, v0
	v_addc_co_u32_e32 v37, vcc, v1, v5, vcc
	v_lshlrev_b64 v[34:35], 2, v[2:3]
	v_mov_b32_e32 v1, s1
	v_add_co_u32_e32 v38, vcc, s0, v34
	v_addc_co_u32_e32 v39, vcc, v1, v35, vcc
	global_load_dwordx4 v[2:5], v[36:37], off offset:48
	global_load_dwordx4 v[6:9], v[36:37], off offset:32
	;; [unrolled: 1-line block ×3, first 2 shown]
	global_load_dwordx4 v[14:17], v[36:37], off
	global_load_dwordx4 v[18:21], v[38:39], off offset:48
	global_load_dwordx4 v[22:25], v[38:39], off offset:32
	;; [unrolled: 1-line block ×3, first 2 shown]
	global_load_dwordx4 v[30:33], v[38:39], off
	s_mul_i32 s0, s6, s36
	s_add_u32 s0, s16, s0
	s_mov_b32 s3, s7
	s_mul_i32 s1, s6, s38
	s_addc_u32 s7, s17, 0
	s_add_u32 s8, s18, s1
	v_cmp_gt_u32_e32 vcc, 16, v0
	v_mov_b32_e32 v1, s7
	v_add_co_u32_e64 v0, s[0:1], s0, v63
	s_addc_u32 s9, s19, 0
	v_addc_co_u32_e64 v1, s[0:1], 0, v1, s[0:1]
	v_mov_b32_e32 v37, s9
	v_add_co_u32_e64 v36, s[0:1], s8, v63
	v_addc_co_u32_e64 v37, s[0:1], 0, v37, s[0:1]
	s_and_saveexec_b64 s[0:1], vcc
	s_cbranch_execz .LBB9_2
; %bb.1:
	global_load_dword v38, v[0:1], off
	global_load_dword v39, v[36:37], off
	s_waitcnt vmcnt(1)
	ds_write_b32 v63, v38
	s_waitcnt vmcnt(0)
	ds_write_b32 v64, v39
.LBB9_2:
	s_or_b64 exec, exec, s[0:1]
	s_lshl_b64 s[16:17], s[2:3], 9
	s_mul_i32 s0, s6, s29
	s_add_u32 s0, s12, s0
	s_addc_u32 s1, s13, 0
	s_add_u32 s0, s0, s16
	s_addc_u32 s1, s1, s17
	s_waitcnt lgkmcnt(0)
	s_barrier
	global_load_dword v44, v63, s[0:1]
	v_mov_b32_e32 v38, s1
	v_add_co_u32_e64 v48, s[0:1], s0, v63
	v_addc_co_u32_e64 v49, s[0:1], 0, v38, s[0:1]
	s_mov_b32 s0, 0x41a00000
	s_waitcnt vmcnt(0)
	v_cmp_ge_f32_e64 s[0:1], s0, v44
	s_and_saveexec_b64 s[8:9], s[0:1]
	s_cbranch_execz .LBB9_4
; %bb.3:
	v_mul_f32_e32 v38, 0x3fb8aa3b, v44
	s_mov_b32 s0, 0x3fb8aa3b
	v_rndne_f32_e32 v39, v38
	v_sub_f32_e32 v40, v38, v39
	v_fma_f32 v38, v44, s0, -v38
	v_fmac_f32_e32 v38, 0x32a5705f, v44
	v_add_f32_e32 v38, v40, v38
	v_exp_f32_e32 v38, v38
	v_cvt_i32_f32_e32 v39, v39
	s_mov_b32 s0, 0xc2ce8ed0
	v_cmp_ngt_f32_e64 s[0:1], s0, v44
	s_mov_b32 s2, 0x7f800000
	v_ldexp_f32 v38, v38, v39
	v_cndmask_b32_e64 v38, 0, v38, s[0:1]
	s_mov_b32 s0, 0x42b17218
	v_mov_b32_e32 v39, 0x7f800000
	v_cmp_nlt_f32_e64 s[0:1], s0, v44
	v_cndmask_b32_e64 v56, v39, v38, s[0:1]
	v_add_f32_e32 v40, 1.0, v56
	v_add_f32_e32 v38, -1.0, v40
	v_sub_f32_e32 v39, v38, v40
	v_add_f32_e32 v39, 1.0, v39
	v_sub_f32_e32 v38, v56, v38
	v_add_f32_e32 v41, v38, v39
	v_frexp_mant_f32_e32 v42, v40
	s_mov_b32 s0, 0x3f2aaaab
	v_cvt_f64_f32_e32 v[38:39], v40
	v_frexp_exp_i32_f64_e32 v38, v[38:39]
	v_cmp_gt_f32_e64 s[0:1], s0, v42
	v_subbrev_co_u32_e64 v46, s[0:1], 0, v38, s[0:1]
	v_sub_u32_e32 v38, 0, v46
	v_ldexp_f32 v39, v40, v38
	v_add_f32_e32 v40, -1.0, v39
	v_add_f32_e32 v42, 1.0, v39
	v_ldexp_f32 v38, v41, v38
	v_add_f32_e32 v41, 1.0, v40
	v_add_f32_e32 v43, -1.0, v42
	v_sub_f32_e32 v41, v39, v41
	v_sub_f32_e32 v39, v39, v43
	v_add_f32_e32 v41, v38, v41
	v_add_f32_e32 v38, v38, v39
	;; [unrolled: 1-line block ×3, first 2 shown]
	v_rcp_f32_e32 v51, v47
	v_sub_f32_e32 v39, v42, v47
	v_add_f32_e32 v50, v38, v39
	v_add_f32_e32 v39, v40, v41
	v_mul_f32_e32 v53, v39, v51
	v_sub_f32_e32 v38, v40, v39
	v_mul_f32_e32 v40, v47, v53
	v_fma_f32 v42, v53, v47, -v40
	v_fmac_f32_e32 v42, v53, v50
	v_add_f32_e32 v52, v41, v38
	v_add_f32_e32 v38, v40, v42
	v_sub_f32_e32 v41, v39, v38
	v_pk_add_f32 v[44:45], v[38:39], v[40:41] neg_lo:[0,1] neg_hi:[0,1]
	v_mov_b32_e32 v43, v38
	v_pk_add_f32 v[38:39], v[44:45], v[42:43] neg_lo:[0,1] neg_hi:[0,1]
	v_add_f32_e32 v39, v52, v39
	v_add_f32_e32 v38, v38, v39
	;; [unrolled: 1-line block ×3, first 2 shown]
	v_mul_f32_e32 v52, v51, v39
	v_mul_f32_e32 v40, v47, v52
	v_fma_f32 v42, v52, v47, -v40
	v_fmac_f32_e32 v42, v52, v50
	v_sub_f32_e32 v41, v41, v39
	v_add_f32_e32 v47, v38, v41
	v_add_f32_e32 v38, v40, v42
	v_sub_f32_e32 v41, v39, v38
	v_pk_add_f32 v[44:45], v[38:39], v[40:41] neg_lo:[0,1] neg_hi:[0,1]
	v_mov_b32_e32 v43, v38
	v_pk_add_f32 v[38:39], v[44:45], v[42:43] neg_lo:[0,1] neg_hi:[0,1]
	v_add_f32_e32 v39, v47, v39
	v_add_f32_e32 v38, v38, v39
	;; [unrolled: 1-line block ×4, first 2 shown]
	v_sub_f32_e32 v39, v41, v53
	v_mul_f32_e32 v38, v51, v38
	v_sub_f32_e32 v39, v52, v39
	v_add_f32_e32 v38, v39, v38
	v_add_f32_e32 v42, v41, v38
	v_mul_f32_e32 v44, v42, v42
	v_mov_b32_e32 v40, 0x3ecc95a3
	v_fmac_f32_e32 v40, 0x3e9b6dac, v44
	v_mov_b32_e32 v39, 0x3f2aaada
	v_fmac_f32_e32 v39, v44, v40
	v_cvt_f32_i32_e32 v40, v46
	v_sub_f32_e32 v41, v42, v41
	v_sub_f32_e32 v38, v38, v41
	v_ldexp_f32 v45, v38, 1
	v_mul_f32_e32 v41, v42, v44
	v_mov_b32_e32 v38, 0x3f317218
	s_mov_b32 s0, 0x3f317218
	v_pk_mul_f32 v[38:39], v[40:41], v[38:39]
	v_ldexp_f32 v43, v42, 1
	v_fma_f32 v42, v40, s0, -v38
	v_fmac_f32_e32 v42, 0xb102e308, v40
	v_pk_add_f32 v[40:41], v[38:39], v[42:43]
	v_sub_f32_e32 v43, v41, v43
	v_sub_f32_e32 v43, v39, v43
	v_add_f32_e32 v45, v45, v43
	v_mov_b32_e32 v44, v38
	v_pk_add_f32 v[38:39], v[40:41], v[38:39] neg_lo:[0,1] neg_hi:[0,1]
	v_pk_add_f32 v[46:47], v[40:41], v[44:45]
	v_mov_b32_e32 v39, v47
	v_mov_b32_e32 v43, v40
	v_pk_add_f32 v[50:51], v[42:43], v[38:39] neg_lo:[0,1] neg_hi:[0,1]
	v_pk_add_f32 v[38:39], v[42:43], v[38:39]
	v_mov_b32_e32 v42, v39
	v_pk_add_f32 v[52:53], v[42:43], v[40:41] neg_lo:[0,1] neg_hi:[0,1]
	v_mov_b32_e32 v43, v52
	v_pk_add_f32 v[54:55], v[46:47], v[42:43] neg_lo:[0,1] neg_hi:[0,1]
	v_mov_b32_e32 v38, v47
	v_mov_b32_e32 v46, v41
	;; [unrolled: 1-line block ×4, first 2 shown]
	v_pk_add_f32 v[38:39], v[38:39], v[46:47] neg_lo:[0,1] neg_hi:[0,1]
	v_mov_b32_e32 v44, v45
	v_mov_b32_e32 v45, v40
	v_pk_add_f32 v[38:39], v[44:45], v[38:39] neg_lo:[0,1] neg_hi:[0,1]
	v_mov_b32_e32 v54, v50
	v_pk_add_f32 v[40:41], v[54:55], v[38:39]
	v_mov_b32_e32 v44, v41
	v_pk_add_f32 v[44:45], v[40:41], v[44:45]
	v_pk_add_f32 v[42:43], v[42:43], v[44:45]
	v_mov_b32_e32 v41, v42
	v_pk_add_f32 v[46:47], v[40:41], v[50:51] neg_lo:[0,1] neg_hi:[0,1]
	v_mov_b32_e32 v39, v44
	v_sub_f32_e32 v40, v40, v46
	v_pk_add_f32 v[38:39], v[38:39], v[46:47] neg_lo:[0,1] neg_hi:[0,1]
	v_sub_f32_e32 v40, v50, v40
	v_add_f32_e32 v38, v38, v40
	v_cmp_eq_f32_e64 s[0:1], s2, v56
	s_mov_b32 s2, 0x33800000
	v_add_f32_e32 v38, v38, v39
	v_cmp_gt_f32_e64 s[2:3], s2, v56
	v_add_f32_e32 v38, v42, v38
	s_or_b64 s[0:1], s[2:3], s[0:1]
	v_cndmask_b32_e64 v44, v38, v56, s[0:1]
.LBB9_4:
	s_or_b64 exec, exec, s[8:9]
	s_load_dwordx4 s[12:15], s[4:5], 0x70
	s_mul_i32 s4, s6, s27
	s_mov_b32 s19, 0x3fb8aa3b
	s_mov_b32 s7, 0xc2ce8ed0
	v_mov_b32_e32 v62, 0
	s_waitcnt lgkmcnt(0)
	s_mul_i32 s1, s6, s15
	s_mul_hi_u32 s2, s6, s14
	s_mul_i32 s0, s6, s14
	s_add_i32 s1, s2, s1
	s_lshl_b64 s[0:1], s[0:1], 5
	s_add_u32 s2, s22, s0
	s_addc_u32 s3, s23, s1
	s_ashr_i32 s8, s31, 2
	s_add_u32 s0, s10, s4
	s_addc_u32 s1, s11, 0
	s_add_u32 s4, s0, s16
	s_addc_u32 s5, s1, s17
	global_load_dword v45, v63, s[4:5]
	s_mov_b32 s18, 0x42b17218
	v_mov_b32_e32 v65, 0x7f800000
	ds_read_b128 v[40:43], v62
	ds_read_b128 v[52:55], v62 offset:16
	s_add_u32 s2, s2, s16
	s_addc_u32 s3, s3, s17
	ds_read_b128 v[56:59], v62 offset:64
	ds_read_b128 v[66:69], v62 offset:80
	s_ashr_i32 s10, s37, 2
	s_ashr_i32 s9, s8, 31
	;; [unrolled: 1-line block ×3, first 2 shown]
	s_waitcnt vmcnt(0)
	v_pk_mul_f32 v[38:39], v[44:45], v[14:15] op_sel_hi:[0,1]
	v_mul_f32_e32 v50, 0x3fb8aa3b, v39
	v_pk_mul_f32 v[46:47], v[44:45], v[16:17] op_sel_hi:[0,1]
	v_mul_f32_e32 v51, 0x3fb8aa3b, v38
	v_fma_f32 v70, v39, s19, -v50
	v_rndne_f32_e32 v71, v50
	v_mul_f32_e32 v60, 0x3fb8aa3b, v47
	v_fma_f32 v72, v38, s19, -v51
	v_rndne_f32_e32 v73, v51
	v_fmac_f32_e32 v70, 0x32a5705f, v39
	v_sub_f32_e32 v50, v50, v71
	v_mul_f32_e32 v61, 0x3fb8aa3b, v46
	v_fma_f32 v74, v47, s19, -v60
	v_rndne_f32_e32 v75, v60
	v_fmac_f32_e32 v72, 0x32a5705f, v38
	v_sub_f32_e32 v51, v51, v73
	v_add_f32_e32 v50, v50, v70
	v_fma_f32 v76, v46, s19, -v61
	v_rndne_f32_e32 v77, v61
	v_cvt_i32_f32_e32 v71, v71
	v_fmac_f32_e32 v74, 0x32a5705f, v47
	v_sub_f32_e32 v60, v60, v75
	v_add_f32_e32 v51, v51, v72
	v_exp_f32_e32 v50, v50
	v_cvt_i32_f32_e32 v73, v73
	v_fmac_f32_e32 v76, 0x32a5705f, v46
	v_sub_f32_e32 v61, v61, v77
	v_add_f32_e32 v60, v60, v74
	v_exp_f32_e32 v51, v51
	v_cvt_i32_f32_e32 v75, v75
	v_add_f32_e32 v61, v61, v76
	v_exp_f32_e32 v60, v60
	v_cvt_i32_f32_e32 v77, v77
	v_exp_f32_e32 v61, v61
	v_ldexp_f32 v50, v50, v71
	v_cmp_ngt_f32_e64 s[0:1], s7, v39
	v_ldexp_f32 v51, v51, v73
	v_cndmask_b32_e64 v50, 0, v50, s[0:1]
	v_cmp_ngt_f32_e64 s[0:1], s7, v38
	v_ldexp_f32 v60, v60, v75
	v_cndmask_b32_e64 v51, 0, v51, s[0:1]
	;; [unrolled: 3-line block ×3, first 2 shown]
	v_cmp_ngt_f32_e64 s[0:1], s7, v46
	v_cndmask_b32_e64 v72, 0, v61, s[0:1]
	v_cmp_nlt_f32_e64 s[0:1], s18, v39
	v_cndmask_b32_e64 v61, v65, v50, s[0:1]
	v_cmp_nlt_f32_e64 s[0:1], s18, v38
	;; [unrolled: 2-line block ×4, first 2 shown]
	v_mul_f32_e32 v46, v44, v45
	v_cndmask_b32_e64 v70, v65, v72, s[0:1]
	s_waitcnt lgkmcnt(3)
	v_pk_mul_f32 v[40:41], v[46:47], v[40:41] op_sel_hi:[0,1]
	v_pk_mul_f32 v[42:43], v[46:47], v[42:43] op_sel_hi:[0,1]
	v_pk_fma_f32 v[30:31], v[30:31], v[60:61], v[40:41]
	v_pk_fma_f32 v[40:41], v[32:33], v[70:71], v[42:43]
	v_pk_mul_f32 v[32:33], v[44:45], v[10:11] op_sel_hi:[0,1]
	v_mul_f32_e32 v42, 0x3fb8aa3b, v33
	v_fma_f32 v43, v33, s19, -v42
	v_rndne_f32_e32 v45, v42
	v_fmac_f32_e32 v43, 0x32a5705f, v33
	v_sub_f32_e32 v42, v42, v45
	v_add_f32_e32 v42, v42, v43
	v_exp_f32_e32 v42, v42
	v_cvt_i32_f32_e32 v43, v45
	v_mov_b32_e32 v38, s5
	v_add_co_u32_e64 v50, s[0:1], s4, v63
	v_ldexp_f32 v42, v42, v43
	v_mul_f32_e32 v43, 0x3fb8aa3b, v32
	v_fma_f32 v45, v32, s19, -v43
	v_rndne_f32_e32 v47, v43
	v_fmac_f32_e32 v45, 0x32a5705f, v32
	v_sub_f32_e32 v43, v43, v47
	v_addc_co_u32_e64 v51, s[0:1], 0, v38, s[0:1]
	v_add_f32_e32 v43, v43, v45
	v_mov_b32_e32 v39, s3
	v_add_co_u32_e64 v38, s[0:1], s2, v63
	v_exp_f32_e32 v43, v43
	v_cvt_i32_f32_e32 v45, v47
	v_addc_co_u32_e64 v39, s[0:1], 0, v39, s[0:1]
	v_cmp_ngt_f32_e64 s[0:1], s7, v33
	v_cndmask_b32_e64 v42, 0, v42, s[0:1]
	v_cmp_nlt_f32_e64 s[0:1], s18, v33
	v_cndmask_b32_e64 v33, v65, v42, s[0:1]
	v_ldexp_f32 v42, v43, v45
	v_cmp_ngt_f32_e64 s[0:1], s7, v32
	v_cndmask_b32_e64 v45, 0, v42, s[0:1]
	v_pk_mul_f32 v[42:43], v[44:45], v[12:13] op_sel_hi:[0,1]
	s_waitcnt lgkmcnt(1)
	v_fma_f32 v70, v56, v30, 0
	v_mul_f32_e32 v47, 0x3fb8aa3b, v43
	v_fmac_f32_e32 v70, v57, v31
	v_fma_f32 v56, v43, s19, -v47
	v_rndne_f32_e32 v57, v47
	v_fmac_f32_e32 v56, 0x32a5705f, v43
	v_sub_f32_e32 v47, v47, v57
	v_add_f32_e32 v47, v47, v56
	v_exp_f32_e32 v47, v47
	v_cmp_nlt_f32_e64 s[0:1], s18, v32
	v_cndmask_b32_e64 v32, v65, v45, s[0:1]
	v_cvt_i32_f32_e32 v56, v57
	v_pk_mul_f32 v[52:53], v[46:47], v[52:53] op_sel_hi:[0,1]
	v_pk_fma_f32 v[52:53], v[26:27], v[32:33], v[52:53]
	v_mul_f32_e32 v27, 0x3fb8aa3b, v42
	v_fma_f32 v32, v42, s19, -v27
	v_rndne_f32_e32 v33, v27
	v_fmac_f32_e32 v32, 0x32a5705f, v42
	v_sub_f32_e32 v27, v27, v33
	v_add_f32_e32 v27, v27, v32
	v_exp_f32_e32 v32, v27
	v_cvt_i32_f32_e32 v33, v33
	v_ldexp_f32 v26, v47, v56
	v_cmp_ngt_f32_e64 s[0:1], s7, v43
	v_cndmask_b32_e64 v26, 0, v26, s[0:1]
	v_cmp_nlt_f32_e64 s[0:1], s18, v43
	v_cndmask_b32_e64 v27, v65, v26, s[0:1]
	v_ldexp_f32 v26, v32, v33
	v_cmp_ngt_f32_e64 s[0:1], s7, v42
	v_cndmask_b32_e64 v26, 0, v26, s[0:1]
	v_cmp_nlt_f32_e64 s[0:1], s18, v42
	v_cndmask_b32_e64 v26, v65, v26, s[0:1]
	v_pk_mul_f32 v[32:33], v[46:47], v[54:55] op_sel_hi:[0,1]
	v_pk_mul_f32 v[42:43], v[44:45], v[6:7] op_sel_hi:[0,1]
	v_pk_fma_f32 v[32:33], v[28:29], v[26:27], v[32:33]
	v_mul_f32_e32 v26, 0x3fb8aa3b, v43
	v_fma_f32 v27, v43, s19, -v26
	v_rndne_f32_e32 v45, v26
	v_fmac_f32_e32 v27, 0x32a5705f, v43
	v_sub_f32_e32 v26, v26, v45
	v_add_f32_e32 v47, v26, v27
	v_exp_f32_e32 v47, v47
	v_cvt_i32_f32_e32 v45, v45
	v_cmp_ngt_f32_e64 s[0:1], s7, v43
	v_fmac_f32_e32 v70, v58, v40
	v_fmac_f32_e32 v70, v59, v41
	v_ldexp_f32 v45, v47, v45
	v_mul_f32_e32 v47, 0x3fb8aa3b, v42
	v_fma_f32 v54, v42, s19, -v47
	v_rndne_f32_e32 v55, v47
	v_fmac_f32_e32 v54, 0x32a5705f, v42
	v_sub_f32_e32 v47, v47, v55
	v_add_f32_e32 v47, v47, v54
	v_exp_f32_e32 v47, v47
	v_cvt_i32_f32_e32 v54, v55
	v_cndmask_b32_e64 v45, 0, v45, s[0:1]
	v_cmp_nlt_f32_e64 s[0:1], s18, v43
	v_cndmask_b32_e64 v43, v65, v45, s[0:1]
	v_ldexp_f32 v45, v47, v54
	v_cmp_ngt_f32_e64 s[0:1], s7, v42
	v_cndmask_b32_e64 v45, 0, v45, s[0:1]
	v_pk_mul_f32 v[60:61], v[44:45], v[8:9] op_sel_hi:[0,1]
	v_mul_f32_e32 v47, 0x3fb8aa3b, v61
	v_fma_f32 v54, v61, s19, -v47
	v_rndne_f32_e32 v55, v47
	v_fmac_f32_e32 v54, 0x32a5705f, v61
	v_sub_f32_e32 v47, v47, v55
	v_add_f32_e32 v47, v47, v54
	ds_read_b128 v[26:29], v62 offset:32
	ds_read_b128 v[56:59], v62 offset:48
	v_exp_f32_e32 v47, v47
	v_cmp_nlt_f32_e64 s[0:1], s18, v42
	v_cndmask_b32_e64 v42, v65, v45, s[0:1]
	s_waitcnt lgkmcnt(2)
	v_fmac_f32_e32 v70, v66, v52
	s_waitcnt lgkmcnt(1)
	v_pk_mul_f32 v[26:27], v[46:47], v[26:27] op_sel_hi:[0,1]
	v_cvt_i32_f32_e32 v66, v55
	v_pk_fma_f32 v[54:55], v[22:23], v[42:43], v[26:27]
	v_mul_f32_e32 v23, 0x3fb8aa3b, v60
	v_fma_f32 v26, v60, s19, -v23
	v_rndne_f32_e32 v27, v23
	v_fmac_f32_e32 v26, 0x32a5705f, v60
	v_sub_f32_e32 v23, v23, v27
	v_add_f32_e32 v23, v23, v26
	v_exp_f32_e32 v26, v23
	v_cvt_i32_f32_e32 v27, v27
	v_ldexp_f32 v22, v47, v66
	v_cmp_ngt_f32_e64 s[0:1], s7, v61
	v_cndmask_b32_e64 v22, 0, v22, s[0:1]
	v_cmp_nlt_f32_e64 s[0:1], s18, v61
	v_cndmask_b32_e64 v23, v65, v22, s[0:1]
	v_ldexp_f32 v22, v26, v27
	v_cmp_ngt_f32_e64 s[0:1], s7, v60
	v_cndmask_b32_e64 v22, 0, v22, s[0:1]
	v_cmp_nlt_f32_e64 s[0:1], s18, v60
	v_cndmask_b32_e64 v22, v65, v22, s[0:1]
	v_pk_mul_f32 v[26:27], v[46:47], v[28:29] op_sel_hi:[0,1]
	v_pk_fma_f32 v[42:43], v[24:25], v[22:23], v[26:27]
	v_pk_mul_f32 v[26:27], v[44:45], v[2:3] op_sel_hi:[0,1]
	v_mul_f32_e32 v28, 0x3fb8aa3b, v27
	v_fma_f32 v29, v27, s19, -v28
	v_rndne_f32_e32 v45, v28
	v_fmac_f32_e32 v29, 0x32a5705f, v27
	v_sub_f32_e32 v28, v28, v45
	v_add_f32_e32 v28, v28, v29
	v_exp_f32_e32 v28, v28
	v_cvt_i32_f32_e32 v29, v45
	v_fmac_f32_e32 v70, v67, v53
	v_fmac_f32_e32 v70, v68, v32
	v_cmp_ngt_f32_e64 s[0:1], s7, v27
	v_ldexp_f32 v28, v28, v29
	v_mul_f32_e32 v29, 0x3fb8aa3b, v26
	v_fma_f32 v45, v26, s19, -v29
	v_rndne_f32_e32 v47, v29
	v_fmac_f32_e32 v45, 0x32a5705f, v26
	v_sub_f32_e32 v29, v29, v47
	v_add_f32_e32 v29, v29, v45
	v_exp_f32_e32 v29, v29
	v_cvt_i32_f32_e32 v45, v47
	v_fmac_f32_e32 v70, v69, v33
	ds_read_b128 v[66:69], v62 offset:96
	ds_read_b128 v[22:25], v62 offset:112
	v_cndmask_b32_e64 v28, 0, v28, s[0:1]
	v_cmp_nlt_f32_e64 s[0:1], s18, v27
	v_cndmask_b32_e64 v27, v65, v28, s[0:1]
	v_ldexp_f32 v28, v29, v45
	v_cmp_ngt_f32_e64 s[0:1], s7, v26
	v_cndmask_b32_e64 v28, 0, v28, s[0:1]
	v_cmp_nlt_f32_e64 s[0:1], s18, v26
	v_cndmask_b32_e64 v26, v65, v28, s[0:1]
	s_waitcnt lgkmcnt(2)
	v_pk_mul_f32 v[28:29], v[46:47], v[56:57] op_sel_hi:[0,1]
	v_pk_mul_f32 v[56:57], v[44:45], v[4:5] op_sel_hi:[0,1]
	v_mul_f32_e32 v44, 0x3fb8aa3b, v57
	s_waitcnt lgkmcnt(1)
	v_fmac_f32_e32 v70, v66, v54
	v_fma_f32 v45, v57, s19, -v44
	v_rndne_f32_e32 v47, v44
	v_fmac_f32_e32 v70, v67, v55
	v_fmac_f32_e32 v45, 0x32a5705f, v57
	v_sub_f32_e32 v44, v44, v47
	v_fmac_f32_e32 v70, v68, v42
	v_add_f32_e32 v44, v44, v45
	v_fmac_f32_e32 v70, v69, v43
	v_exp_f32_e32 v60, v44
	v_pk_fma_f32 v[44:45], v[18:19], v[26:27], v[28:29]
	s_waitcnt lgkmcnt(0)
	v_fmac_f32_e32 v70, v22, v44
	v_mul_f32_e32 v19, 0x3fb8aa3b, v56
	v_fmac_f32_e32 v70, v23, v45
	v_fma_f32 v22, v56, s19, -v19
	v_rndne_f32_e32 v23, v19
	v_cvt_i32_f32_e32 v47, v47
	v_fmac_f32_e32 v22, 0x32a5705f, v56
	v_sub_f32_e32 v19, v19, v23
	v_add_f32_e32 v19, v19, v22
	v_exp_f32_e32 v22, v19
	v_cvt_i32_f32_e32 v23, v23
	v_ldexp_f32 v18, v60, v47
	v_cmp_ngt_f32_e64 s[0:1], s7, v57
	v_cndmask_b32_e64 v18, 0, v18, s[0:1]
	v_cmp_nlt_f32_e64 s[0:1], s18, v57
	v_cndmask_b32_e64 v19, v65, v18, s[0:1]
	v_ldexp_f32 v18, v22, v23
	v_cmp_ngt_f32_e64 s[0:1], s7, v56
	v_cndmask_b32_e64 v18, 0, v18, s[0:1]
	v_cmp_nlt_f32_e64 s[0:1], s18, v56
	v_cndmask_b32_e64 v18, v65, v18, s[0:1]
	v_pk_mul_f32 v[22:23], v[46:47], v[58:59] op_sel_hi:[0,1]
	v_pk_fma_f32 v[46:47], v[20:21], v[18:19], v[22:23]
	v_fmac_f32_e32 v70, v24, v46
	v_fmac_f32_e32 v70, v25, v47
	global_store_dword v63, v70, s[2:3]
	s_barrier
	s_and_saveexec_b64 s[2:3], vcc
	s_cbranch_execz .LBB9_6
; %bb.5:
	s_lshl_b64 s[0:1], s[8:9], 2
	v_mov_b32_e32 v19, s1
	v_add_co_u32_e64 v18, s[0:1], s0, v0
	v_addc_co_u32_e64 v19, s[0:1], v1, v19, s[0:1]
	s_lshl_b64 s[0:1], s[10:11], 2
	global_load_dword v20, v[18:19], off
	v_mov_b32_e32 v19, s1
	v_add_co_u32_e64 v18, s[0:1], s0, v36
	v_addc_co_u32_e64 v19, s[0:1], v37, v19, s[0:1]
	global_load_dword v18, v[18:19], off
	s_waitcnt vmcnt(1)
	ds_write_b32 v63, v20
	s_waitcnt vmcnt(0)
	ds_write_b32 v64, v18
.LBB9_6:
	s_or_b64 exec, exec, s[2:3]
	s_ashr_i32 s0, s28, 2
	s_ashr_i32 s1, s0, 31
	s_lshl_b64 s[16:17], s[0:1], 2
	v_mov_b32_e32 v18, s17
	v_add_co_u32_e64 v48, s[0:1], s16, v48
	v_addc_co_u32_e64 v49, s[0:1], v49, v18, s[0:1]
	s_waitcnt lgkmcnt(0)
	s_barrier
	global_load_dword v56, v[48:49], off
	s_mov_b32 s0, 0x41a00000
	s_waitcnt vmcnt(0)
	v_cmp_ge_f32_e64 s[0:1], s0, v56
	s_and_saveexec_b64 s[4:5], s[0:1]
	s_cbranch_execz .LBB9_8
; %bb.7:
	v_mul_f32_e32 v18, 0x3fb8aa3b, v56
	s_mov_b32 s0, 0x3fb8aa3b
	v_rndne_f32_e32 v19, v18
	v_sub_f32_e32 v20, v18, v19
	v_fma_f32 v18, v56, s0, -v18
	v_fmac_f32_e32 v18, 0x32a5705f, v56
	v_add_f32_e32 v18, v20, v18
	v_exp_f32_e32 v18, v18
	v_cvt_i32_f32_e32 v19, v19
	s_mov_b32 s0, 0xc2ce8ed0
	v_cmp_ngt_f32_e64 s[0:1], s0, v56
	s_mov_b32 s2, 0x7f800000
	v_ldexp_f32 v18, v18, v19
	v_cndmask_b32_e64 v18, 0, v18, s[0:1]
	s_mov_b32 s0, 0x42b17218
	v_mov_b32_e32 v19, 0x7f800000
	v_cmp_nlt_f32_e64 s[0:1], s0, v56
	v_cndmask_b32_e64 v60, v19, v18, s[0:1]
	v_add_f32_e32 v20, 1.0, v60
	v_add_f32_e32 v18, -1.0, v20
	v_sub_f32_e32 v19, v18, v20
	v_add_f32_e32 v19, 1.0, v19
	v_sub_f32_e32 v18, v60, v18
	v_add_f32_e32 v21, v18, v19
	v_frexp_mant_f32_e32 v22, v20
	s_mov_b32 s0, 0x3f2aaaab
	v_cvt_f64_f32_e32 v[18:19], v20
	v_frexp_exp_i32_f64_e32 v18, v[18:19]
	v_cmp_gt_f32_e64 s[0:1], s0, v22
	v_subbrev_co_u32_e64 v26, s[0:1], 0, v18, s[0:1]
	v_sub_u32_e32 v18, 0, v26
	v_ldexp_f32 v19, v20, v18
	v_add_f32_e32 v20, -1.0, v19
	v_add_f32_e32 v22, 1.0, v19
	v_ldexp_f32 v18, v21, v18
	v_add_f32_e32 v21, 1.0, v20
	v_add_f32_e32 v23, -1.0, v22
	v_sub_f32_e32 v21, v19, v21
	v_sub_f32_e32 v19, v19, v23
	v_add_f32_e32 v21, v18, v21
	v_add_f32_e32 v18, v18, v19
	;; [unrolled: 1-line block ×3, first 2 shown]
	v_rcp_f32_e32 v29, v27
	v_sub_f32_e32 v19, v22, v27
	v_add_f32_e32 v28, v18, v19
	v_add_f32_e32 v19, v20, v21
	v_mul_f32_e32 v57, v19, v29
	v_sub_f32_e32 v18, v20, v19
	v_mul_f32_e32 v20, v27, v57
	v_fma_f32 v22, v57, v27, -v20
	v_fmac_f32_e32 v22, v57, v28
	v_add_f32_e32 v56, v21, v18
	v_add_f32_e32 v18, v20, v22
	v_sub_f32_e32 v21, v19, v18
	v_pk_add_f32 v[24:25], v[18:19], v[20:21] neg_lo:[0,1] neg_hi:[0,1]
	v_mov_b32_e32 v23, v18
	v_pk_add_f32 v[18:19], v[24:25], v[22:23] neg_lo:[0,1] neg_hi:[0,1]
	v_add_f32_e32 v19, v56, v19
	v_add_f32_e32 v18, v18, v19
	;; [unrolled: 1-line block ×3, first 2 shown]
	v_mul_f32_e32 v56, v29, v19
	v_mul_f32_e32 v20, v27, v56
	v_fma_f32 v22, v56, v27, -v20
	v_fmac_f32_e32 v22, v56, v28
	v_sub_f32_e32 v21, v21, v19
	v_add_f32_e32 v27, v18, v21
	v_add_f32_e32 v18, v20, v22
	v_sub_f32_e32 v21, v19, v18
	v_pk_add_f32 v[24:25], v[18:19], v[20:21] neg_lo:[0,1] neg_hi:[0,1]
	v_mov_b32_e32 v23, v18
	v_pk_add_f32 v[18:19], v[24:25], v[22:23] neg_lo:[0,1] neg_hi:[0,1]
	v_add_f32_e32 v19, v27, v19
	v_add_f32_e32 v18, v18, v19
	;; [unrolled: 1-line block ×4, first 2 shown]
	v_sub_f32_e32 v19, v21, v57
	v_mul_f32_e32 v18, v29, v18
	v_sub_f32_e32 v19, v56, v19
	v_add_f32_e32 v18, v19, v18
	v_add_f32_e32 v22, v21, v18
	v_mul_f32_e32 v24, v22, v22
	v_mov_b32_e32 v20, 0x3ecc95a3
	v_fmac_f32_e32 v20, 0x3e9b6dac, v24
	v_mov_b32_e32 v19, 0x3f2aaada
	v_fmac_f32_e32 v19, v24, v20
	v_cvt_f32_i32_e32 v20, v26
	v_sub_f32_e32 v21, v22, v21
	v_sub_f32_e32 v18, v18, v21
	v_ldexp_f32 v25, v18, 1
	v_mul_f32_e32 v21, v22, v24
	v_mov_b32_e32 v18, 0x3f317218
	s_mov_b32 s0, 0x3f317218
	v_pk_mul_f32 v[18:19], v[20:21], v[18:19]
	v_ldexp_f32 v23, v22, 1
	v_fma_f32 v22, v20, s0, -v18
	v_fmac_f32_e32 v22, 0xb102e308, v20
	v_pk_add_f32 v[20:21], v[18:19], v[22:23]
	v_sub_f32_e32 v23, v21, v23
	v_sub_f32_e32 v23, v19, v23
	v_add_f32_e32 v25, v25, v23
	v_mov_b32_e32 v24, v18
	v_pk_add_f32 v[18:19], v[20:21], v[18:19] neg_lo:[0,1] neg_hi:[0,1]
	v_pk_add_f32 v[26:27], v[20:21], v[24:25]
	v_mov_b32_e32 v19, v27
	v_mov_b32_e32 v23, v20
	v_pk_add_f32 v[28:29], v[22:23], v[18:19] neg_lo:[0,1] neg_hi:[0,1]
	v_pk_add_f32 v[18:19], v[22:23], v[18:19]
	v_mov_b32_e32 v22, v19
	v_pk_add_f32 v[56:57], v[22:23], v[20:21] neg_lo:[0,1] neg_hi:[0,1]
	v_mov_b32_e32 v23, v56
	v_pk_add_f32 v[58:59], v[26:27], v[22:23] neg_lo:[0,1] neg_hi:[0,1]
	v_mov_b32_e32 v18, v27
	v_mov_b32_e32 v26, v21
	v_mov_b32_e32 v27, v56
	v_mov_b32_e32 v29, v19
	v_pk_add_f32 v[18:19], v[18:19], v[26:27] neg_lo:[0,1] neg_hi:[0,1]
	v_mov_b32_e32 v24, v25
	v_mov_b32_e32 v25, v20
	v_pk_add_f32 v[18:19], v[24:25], v[18:19] neg_lo:[0,1] neg_hi:[0,1]
	v_mov_b32_e32 v58, v28
	v_pk_add_f32 v[20:21], v[58:59], v[18:19]
	v_mov_b32_e32 v24, v21
	v_pk_add_f32 v[24:25], v[20:21], v[24:25]
	v_pk_add_f32 v[22:23], v[22:23], v[24:25]
	v_mov_b32_e32 v21, v22
	v_pk_add_f32 v[26:27], v[20:21], v[28:29] neg_lo:[0,1] neg_hi:[0,1]
	v_mov_b32_e32 v19, v24
	v_sub_f32_e32 v20, v20, v26
	v_pk_add_f32 v[18:19], v[18:19], v[26:27] neg_lo:[0,1] neg_hi:[0,1]
	v_sub_f32_e32 v20, v28, v20
	v_add_f32_e32 v18, v18, v20
	v_cmp_eq_f32_e64 s[0:1], s2, v60
	s_mov_b32 s2, 0x33800000
	v_add_f32_e32 v18, v18, v19
	v_cmp_gt_f32_e64 s[2:3], s2, v60
	v_add_f32_e32 v18, v22, v18
	s_or_b64 s[0:1], s[2:3], s[0:1]
	v_cndmask_b32_e64 v56, v18, v60, s[0:1]
.LBB9_8:
	s_or_b64 exec, exec, s[4:5]
	s_ashr_i32 s0, s26, 2
	s_ashr_i32 s1, s0, 31
	s_lshl_b64 s[18:19], s[0:1], 2
	v_mov_b32_e32 v18, s19
	v_add_co_u32_e64 v50, s[0:1], s18, v50
	v_addc_co_u32_e64 v51, s[0:1], v51, v18, s[0:1]
	global_load_dword v57, v[50:51], off
	s_mov_b32 s24, 0x3fb8aa3b
	s_bfe_i64 s[20:21], s[14:15], 0x200000
	v_mov_b32_e32 v62, 0
	s_mov_b32 s15, 0x42b17218
	v_mov_b32_e32 v65, 0x7f800000
	ds_read_b128 v[26:29], v62
	ds_read_b128 v[66:69], v62 offset:16
	ds_read_b128 v[22:25], v62 offset:32
	;; [unrolled: 1-line block ×3, first 2 shown]
	s_mov_b32 s26, 0
	s_waitcnt vmcnt(0)
	v_pk_mul_f32 v[58:59], v[56:57], v[14:15] op_sel_hi:[0,1]
	v_mul_f32_e32 v70, 0x3fb8aa3b, v59
	v_pk_mul_f32 v[60:61], v[56:57], v[16:17] op_sel_hi:[0,1]
	v_mul_f32_e32 v71, 0x3fb8aa3b, v58
	v_fma_f32 v75, v59, s24, -v70
	v_rndne_f32_e32 v76, v70
	v_mul_f32_e32 v72, 0x3fb8aa3b, v61
	v_fma_f32 v77, v58, s24, -v71
	v_rndne_f32_e32 v80, v71
	v_fmac_f32_e32 v75, 0x32a5705f, v59
	v_sub_f32_e32 v70, v70, v76
	v_mul_f32_e32 v73, 0x3fb8aa3b, v60
	v_fma_f32 v81, v61, s24, -v72
	v_rndne_f32_e32 v82, v72
	v_add_f32_e32 v70, v70, v75
	v_fmac_f32_e32 v77, 0x32a5705f, v58
	v_sub_f32_e32 v71, v71, v80
	v_fma_f32 v83, v60, s24, -v73
	v_rndne_f32_e32 v84, v73
	v_add_f32_e32 v71, v71, v77
	v_cvt_i32_f32_e32 v76, v76
	v_fmac_f32_e32 v81, 0x32a5705f, v61
	v_sub_f32_e32 v72, v72, v82
	v_exp_f32_e32 v70, v70
	v_cvt_i32_f32_e32 v77, v80
	v_fmac_f32_e32 v83, 0x32a5705f, v60
	v_sub_f32_e32 v73, v73, v84
	v_add_f32_e32 v72, v72, v81
	v_exp_f32_e32 v71, v71
	v_cvt_i32_f32_e32 v80, v82
	v_add_f32_e32 v73, v73, v83
	v_exp_f32_e32 v72, v72
	v_cvt_i32_f32_e32 v82, v84
	v_exp_f32_e32 v81, v73
	v_ldexp_f32 v70, v70, v76
	v_cmp_ngt_f32_e64 s[0:1], s7, v59
	v_ldexp_f32 v71, v71, v77
	v_cndmask_b32_e64 v84, 0, v70, s[0:1]
	v_cmp_ngt_f32_e64 s[0:1], s7, v58
	v_pk_mul_f32 v[78:79], v[56:57], v[10:11] op_sel_hi:[0,1]
	v_ldexp_f32 v80, v72, v80
	v_cndmask_b32_e64 v86, 0, v71, s[0:1]
	v_cmp_nlt_f32_e64 s[0:1], s15, v59
	v_cmp_ngt_f32_e64 s[4:5], s7, v61
	v_mul_f32_e32 v74, 0x3fb8aa3b, v79
	v_cmp_nlt_f32_e64 s[2:3], s15, v58
	v_ldexp_f32 v58, v81, v82
	v_cndmask_b32_e64 v59, 0, v80, s[4:5]
	v_cmp_ngt_f32_e64 s[4:5], s7, v60
	v_cndmask_b32_e64 v81, v65, v84, s[0:1]
	v_cmp_nlt_f32_e64 s[0:1], s15, v61
	v_fma_f32 v75, v79, s24, -v74
	v_rndne_f32_e32 v85, v74
	v_cndmask_b32_e64 v58, 0, v58, s[4:5]
	v_cndmask_b32_e64 v61, v65, v59, s[0:1]
	v_cmp_nlt_f32_e64 s[0:1], s15, v60
	v_fmac_f32_e32 v75, 0x32a5705f, v79
	v_sub_f32_e32 v74, v74, v85
	v_cndmask_b32_e64 v60, v65, v58, s[0:1]
	v_mul_f32_e32 v58, v56, v57
	v_add_f32_e32 v83, v74, v75
	v_cndmask_b32_e64 v80, v65, v86, s[2:3]
	s_waitcnt lgkmcnt(3)
	v_pk_mul_f32 v[26:27], v[58:59], v[26:27] op_sel_hi:[0,1]
	v_pk_fma_f32 v[26:27], v[30:31], v[80:81], v[26:27]
	v_exp_f32_e32 v30, v83
	v_cvt_i32_f32_e32 v31, v85
	ds_read_b128 v[70:73], v62 offset:64
	ds_read_b128 v[74:77], v62 offset:80
	v_pk_mul_f32 v[28:29], v[58:59], v[28:29] op_sel_hi:[0,1]
	v_pk_fma_f32 v[28:29], v[40:41], v[60:61], v[28:29]
	v_ldexp_f32 v30, v30, v31
	v_mul_f32_e32 v31, 0x3fb8aa3b, v78
	v_fma_f32 v40, v78, s24, -v31
	v_rndne_f32_e32 v41, v31
	v_fmac_f32_e32 v40, 0x32a5705f, v78
	v_sub_f32_e32 v31, v31, v41
	v_add_f32_e32 v31, v31, v40
	s_waitcnt lgkmcnt(1)
	v_fma_f32 v57, v70, v26, 0
	v_exp_f32_e32 v40, v31
	v_cvt_i32_f32_e32 v41, v41
	v_fmac_f32_e32 v57, v71, v27
	v_fmac_f32_e32 v57, v72, v28
	v_cmp_ngt_f32_e64 s[0:1], s7, v79
	v_fmac_f32_e32 v57, v73, v29
	v_cndmask_b32_e64 v30, 0, v30, s[0:1]
	v_cmp_nlt_f32_e64 s[0:1], s15, v79
	v_cndmask_b32_e64 v31, v65, v30, s[0:1]
	v_ldexp_f32 v30, v40, v41
	v_cmp_ngt_f32_e64 s[0:1], s7, v78
	v_pk_mul_f32 v[60:61], v[56:57], v[12:13] op_sel_hi:[0,1]
	v_cndmask_b32_e64 v30, 0, v30, s[0:1]
	v_cmp_nlt_f32_e64 s[0:1], s15, v78
	v_pk_mul_f32 v[40:41], v[58:59], v[66:67] op_sel_hi:[0,1]
	v_mul_f32_e32 v59, 0x3fb8aa3b, v61
	v_cndmask_b32_e64 v30, v65, v30, s[0:1]
	v_fma_f32 v66, v61, s24, -v59
	v_rndne_f32_e32 v67, v59
	v_fmac_f32_e32 v66, 0x32a5705f, v61
	v_sub_f32_e32 v59, v59, v67
	v_pk_fma_f32 v[30:31], v[52:53], v[30:31], v[40:41]
	v_mul_f32_e32 v41, 0x3fb8aa3b, v60
	v_add_f32_e32 v59, v59, v66
	v_fma_f32 v52, v60, s24, -v41
	v_rndne_f32_e32 v53, v41
	v_exp_f32_e32 v59, v59
	v_cvt_i32_f32_e32 v66, v67
	v_fmac_f32_e32 v52, 0x32a5705f, v60
	v_sub_f32_e32 v41, v41, v53
	v_add_f32_e32 v41, v41, v52
	v_exp_f32_e32 v52, v41
	v_cvt_i32_f32_e32 v53, v53
	v_ldexp_f32 v40, v59, v66
	v_cmp_ngt_f32_e64 s[0:1], s7, v61
	s_waitcnt lgkmcnt(0)
	v_fmac_f32_e32 v57, v74, v30
	v_cndmask_b32_e64 v40, 0, v40, s[0:1]
	v_cmp_nlt_f32_e64 s[0:1], s15, v61
	v_fmac_f32_e32 v57, v75, v31
	v_cndmask_b32_e64 v41, v65, v40, s[0:1]
	v_ldexp_f32 v40, v52, v53
	v_cmp_ngt_f32_e64 s[0:1], s7, v60
	v_cndmask_b32_e64 v40, 0, v40, s[0:1]
	v_cmp_nlt_f32_e64 s[0:1], s15, v60
	v_pk_mul_f32 v[60:61], v[56:57], v[6:7] op_sel_hi:[0,1]
	v_pk_mul_f32 v[52:53], v[58:59], v[68:69] op_sel_hi:[0,1]
	v_mul_f32_e32 v59, 0x3fb8aa3b, v61
	v_cndmask_b32_e64 v40, v65, v40, s[0:1]
	v_fma_f32 v66, v61, s24, -v59
	v_rndne_f32_e32 v67, v59
	v_fmac_f32_e32 v66, 0x32a5705f, v61
	v_sub_f32_e32 v59, v59, v67
	v_pk_fma_f32 v[32:33], v[32:33], v[40:41], v[52:53]
	v_mul_f32_e32 v41, 0x3fb8aa3b, v60
	v_add_f32_e32 v59, v59, v66
	v_fma_f32 v52, v60, s24, -v41
	v_rndne_f32_e32 v53, v41
	v_exp_f32_e32 v59, v59
	v_cvt_i32_f32_e32 v66, v67
	v_fmac_f32_e32 v52, 0x32a5705f, v60
	v_sub_f32_e32 v41, v41, v53
	v_add_f32_e32 v41, v41, v52
	v_exp_f32_e32 v52, v41
	v_cvt_i32_f32_e32 v53, v53
	v_ldexp_f32 v40, v59, v66
	v_cmp_ngt_f32_e64 s[0:1], s7, v61
	v_cndmask_b32_e64 v40, 0, v40, s[0:1]
	v_cmp_nlt_f32_e64 s[0:1], s15, v61
	v_cndmask_b32_e64 v41, v65, v40, s[0:1]
	v_ldexp_f32 v40, v52, v53
	v_cmp_ngt_f32_e64 s[0:1], s7, v60
	v_fmac_f32_e32 v57, v76, v32
	v_cndmask_b32_e64 v40, 0, v40, s[0:1]
	v_cmp_nlt_f32_e64 s[0:1], s15, v60
	v_fmac_f32_e32 v57, v77, v33
	v_cndmask_b32_e64 v40, v65, v40, s[0:1]
	v_pk_mul_f32 v[22:23], v[58:59], v[22:23] op_sel_hi:[0,1]
	v_pk_fma_f32 v[40:41], v[54:55], v[40:41], v[22:23]
	v_pk_mul_f32 v[22:23], v[56:57], v[8:9] op_sel_hi:[0,1]
	v_mul_f32_e32 v52, 0x3fb8aa3b, v23
	v_rndne_f32_e32 v60, v52
	v_fma_f32 v59, v23, s24, -v52
	v_sub_f32_e32 v61, v52, v60
	ds_read_b128 v[52:55], v62 offset:96
	ds_read_b128 v[66:69], v62 offset:112
	v_fmac_f32_e32 v59, 0x32a5705f, v23
	v_add_f32_e32 v59, v61, v59
	v_exp_f32_e32 v59, v59
	v_cvt_i32_f32_e32 v60, v60
	s_waitcnt lgkmcnt(1)
	v_fmac_f32_e32 v57, v52, v40
	v_fmac_f32_e32 v57, v53, v41
	v_mul_f32_e32 v53, 0x3fb8aa3b, v22
	v_ldexp_f32 v52, v59, v60
	v_fma_f32 v59, v22, s24, -v53
	v_rndne_f32_e32 v60, v53
	v_fmac_f32_e32 v59, 0x32a5705f, v22
	v_sub_f32_e32 v53, v53, v60
	v_add_f32_e32 v53, v53, v59
	v_exp_f32_e32 v53, v53
	v_cvt_i32_f32_e32 v59, v60
	v_cmp_ngt_f32_e64 s[0:1], s7, v23
	v_cndmask_b32_e64 v52, 0, v52, s[0:1]
	v_cmp_nlt_f32_e64 s[0:1], s15, v23
	v_cndmask_b32_e64 v23, v65, v52, s[0:1]
	v_ldexp_f32 v52, v53, v59
	v_cmp_ngt_f32_e64 s[0:1], s7, v22
	v_cndmask_b32_e64 v52, 0, v52, s[0:1]
	v_cmp_nlt_f32_e64 s[0:1], s15, v22
	v_cndmask_b32_e64 v22, v65, v52, s[0:1]
	v_pk_mul_f32 v[52:53], v[56:57], v[2:3] op_sel_hi:[0,1]
	v_pk_mul_f32 v[24:25], v[58:59], v[24:25] op_sel_hi:[0,1]
	v_mul_f32_e32 v59, 0x3fb8aa3b, v53
	v_fma_f32 v60, v53, s24, -v59
	v_rndne_f32_e32 v61, v59
	v_fmac_f32_e32 v60, 0x32a5705f, v53
	v_sub_f32_e32 v59, v59, v61
	v_pk_fma_f32 v[42:43], v[42:43], v[22:23], v[24:25]
	v_mul_f32_e32 v23, 0x3fb8aa3b, v52
	v_add_f32_e32 v59, v59, v60
	v_fma_f32 v24, v52, s24, -v23
	v_rndne_f32_e32 v25, v23
	v_exp_f32_e32 v59, v59
	v_cvt_i32_f32_e32 v60, v61
	v_fmac_f32_e32 v24, 0x32a5705f, v52
	v_sub_f32_e32 v23, v23, v25
	v_add_f32_e32 v23, v23, v24
	v_exp_f32_e32 v24, v23
	v_cvt_i32_f32_e32 v25, v25
	v_fmac_f32_e32 v57, v54, v42
	v_ldexp_f32 v22, v59, v60
	v_cmp_ngt_f32_e64 s[0:1], s7, v53
	v_fmac_f32_e32 v57, v55, v43
	v_cndmask_b32_e64 v22, 0, v22, s[0:1]
	v_cmp_nlt_f32_e64 s[0:1], s15, v53
	v_cndmask_b32_e64 v23, v65, v22, s[0:1]
	v_ldexp_f32 v22, v24, v25
	v_cmp_ngt_f32_e64 s[0:1], s7, v52
	v_pk_mul_f32 v[24:25], v[56:57], v[4:5] op_sel_hi:[0,1]
	v_cndmask_b32_e64 v22, 0, v22, s[0:1]
	v_cmp_nlt_f32_e64 s[0:1], s15, v52
	v_mul_f32_e32 v52, 0x3fb8aa3b, v25
	v_cndmask_b32_e64 v22, v65, v22, s[0:1]
	v_pk_mul_f32 v[18:19], v[58:59], v[18:19] op_sel_hi:[0,1]
	v_fma_f32 v53, v25, s24, -v52
	v_rndne_f32_e32 v54, v52
	v_fmac_f32_e32 v53, 0x32a5705f, v25
	v_sub_f32_e32 v52, v52, v54
	v_pk_fma_f32 v[44:45], v[44:45], v[22:23], v[18:19]
	v_mul_f32_e32 v19, 0x3fb8aa3b, v24
	v_add_f32_e32 v52, v52, v53
	v_fma_f32 v22, v24, s24, -v19
	v_rndne_f32_e32 v23, v19
	v_exp_f32_e32 v52, v52
	v_cvt_i32_f32_e32 v53, v54
	v_fmac_f32_e32 v22, 0x32a5705f, v24
	v_sub_f32_e32 v19, v19, v23
	v_add_f32_e32 v19, v19, v22
	v_exp_f32_e32 v22, v19
	v_cvt_i32_f32_e32 v23, v23
	v_ldexp_f32 v18, v52, v53
	v_cmp_ngt_f32_e64 s[0:1], s7, v25
	v_cndmask_b32_e64 v18, 0, v18, s[0:1]
	v_cmp_nlt_f32_e64 s[0:1], s15, v25
	v_cndmask_b32_e64 v19, v65, v18, s[0:1]
	v_ldexp_f32 v18, v22, v23
	v_cmp_ngt_f32_e64 s[0:1], s7, v24
	v_cndmask_b32_e64 v18, 0, v18, s[0:1]
	v_cmp_nlt_f32_e64 s[0:1], s15, v24
	s_waitcnt lgkmcnt(0)
	v_fmac_f32_e32 v57, v66, v44
	v_cndmask_b32_e64 v18, v65, v18, s[0:1]
	v_pk_mul_f32 v[20:21], v[58:59], v[20:21] op_sel_hi:[0,1]
	v_fmac_f32_e32 v57, v67, v45
	v_pk_fma_f32 v[46:47], v[46:47], v[18:19], v[20:21]
	s_lshl_b64 s[4:5], s[20:21], 2
	v_fmac_f32_e32 v57, v68, v46
	v_mov_b32_e32 v19, s5
	v_add_co_u32_e64 v18, s[0:1], s4, v38
	v_fmac_f32_e32 v57, v69, v47
	v_addc_co_u32_e64 v19, s[0:1], v39, v19, s[0:1]
	global_store_dword v[18:19], v57, off
	s_barrier
	s_and_saveexec_b64 s[2:3], vcc
	s_cbranch_execz .LBB9_10
; %bb.9:
	s_lshl_b64 s[0:1], s[8:9], 3
	v_mov_b32_e32 v19, s1
	v_add_co_u32_e64 v18, s[0:1], s0, v0
	v_addc_co_u32_e64 v19, s[0:1], v1, v19, s[0:1]
	s_lshl_b64 s[0:1], s[10:11], 3
	global_load_dword v20, v[18:19], off
	v_mov_b32_e32 v19, s1
	v_add_co_u32_e64 v18, s[0:1], s0, v36
	v_addc_co_u32_e64 v19, s[0:1], v37, v19, s[0:1]
	global_load_dword v18, v[18:19], off
	s_waitcnt vmcnt(1)
	ds_write_b32 v63, v20
	s_waitcnt vmcnt(0)
	ds_write_b32 v64, v18
.LBB9_10:
	s_or_b64 exec, exec, s[2:3]
	v_mov_b32_e32 v18, s17
	v_add_co_u32_e64 v48, s[0:1], s16, v48
	v_addc_co_u32_e64 v49, s[0:1], v49, v18, s[0:1]
	s_waitcnt lgkmcnt(0)
	s_barrier
	global_load_dword v56, v[48:49], off
	s_mov_b32 s0, 0x41a00000
	s_mov_b32 s27, s14
	s_waitcnt vmcnt(0)
	v_cmp_ge_f32_e64 s[0:1], s0, v56
	s_and_saveexec_b64 s[14:15], s[0:1]
	s_cbranch_execz .LBB9_12
; %bb.11:
	v_mul_f32_e32 v18, 0x3fb8aa3b, v56
	s_mov_b32 s0, 0x3fb8aa3b
	v_rndne_f32_e32 v19, v18
	v_sub_f32_e32 v20, v18, v19
	v_fma_f32 v18, v56, s0, -v18
	v_fmac_f32_e32 v18, 0x32a5705f, v56
	v_add_f32_e32 v18, v20, v18
	v_exp_f32_e32 v18, v18
	v_cvt_i32_f32_e32 v19, v19
	s_mov_b32 s0, 0xc2ce8ed0
	v_cmp_ngt_f32_e64 s[0:1], s0, v56
	s_mov_b32 s2, 0x7f800000
	v_ldexp_f32 v18, v18, v19
	v_cndmask_b32_e64 v18, 0, v18, s[0:1]
	s_mov_b32 s0, 0x42b17218
	v_mov_b32_e32 v19, 0x7f800000
	v_cmp_nlt_f32_e64 s[0:1], s0, v56
	v_cndmask_b32_e64 v60, v19, v18, s[0:1]
	v_add_f32_e32 v20, 1.0, v60
	v_add_f32_e32 v18, -1.0, v20
	v_sub_f32_e32 v19, v18, v20
	v_add_f32_e32 v19, 1.0, v19
	v_sub_f32_e32 v18, v60, v18
	v_add_f32_e32 v21, v18, v19
	v_frexp_mant_f32_e32 v22, v20
	s_mov_b32 s0, 0x3f2aaaab
	v_cvt_f64_f32_e32 v[18:19], v20
	v_frexp_exp_i32_f64_e32 v18, v[18:19]
	v_cmp_gt_f32_e64 s[0:1], s0, v22
	v_subbrev_co_u32_e64 v52, s[0:1], 0, v18, s[0:1]
	v_sub_u32_e32 v18, 0, v52
	v_ldexp_f32 v19, v20, v18
	v_add_f32_e32 v20, -1.0, v19
	v_add_f32_e32 v22, 1.0, v19
	v_ldexp_f32 v18, v21, v18
	v_add_f32_e32 v21, 1.0, v20
	v_add_f32_e32 v23, -1.0, v22
	v_sub_f32_e32 v21, v19, v21
	v_sub_f32_e32 v19, v19, v23
	v_add_f32_e32 v21, v18, v21
	v_add_f32_e32 v18, v18, v19
	;; [unrolled: 1-line block ×3, first 2 shown]
	v_rcp_f32_e32 v55, v53
	v_sub_f32_e32 v19, v22, v53
	v_add_f32_e32 v54, v18, v19
	v_add_f32_e32 v19, v20, v21
	v_mul_f32_e32 v57, v19, v55
	v_sub_f32_e32 v18, v20, v19
	v_mul_f32_e32 v20, v53, v57
	v_fma_f32 v22, v57, v53, -v20
	v_fmac_f32_e32 v22, v57, v54
	v_add_f32_e32 v56, v21, v18
	v_add_f32_e32 v18, v20, v22
	v_sub_f32_e32 v21, v19, v18
	v_pk_add_f32 v[24:25], v[18:19], v[20:21] neg_lo:[0,1] neg_hi:[0,1]
	v_mov_b32_e32 v23, v18
	v_pk_add_f32 v[18:19], v[24:25], v[22:23] neg_lo:[0,1] neg_hi:[0,1]
	v_add_f32_e32 v19, v56, v19
	v_add_f32_e32 v18, v18, v19
	v_add_f32_e32 v19, v21, v18
	v_mul_f32_e32 v56, v55, v19
	v_mul_f32_e32 v20, v53, v56
	v_fma_f32 v22, v56, v53, -v20
	v_fmac_f32_e32 v22, v56, v54
	v_sub_f32_e32 v21, v21, v19
	v_add_f32_e32 v53, v18, v21
	v_add_f32_e32 v18, v20, v22
	v_sub_f32_e32 v21, v19, v18
	v_pk_add_f32 v[24:25], v[18:19], v[20:21] neg_lo:[0,1] neg_hi:[0,1]
	v_mov_b32_e32 v23, v18
	v_pk_add_f32 v[18:19], v[24:25], v[22:23] neg_lo:[0,1] neg_hi:[0,1]
	v_add_f32_e32 v19, v53, v19
	v_add_f32_e32 v18, v18, v19
	;; [unrolled: 1-line block ×4, first 2 shown]
	v_sub_f32_e32 v19, v21, v57
	v_mul_f32_e32 v18, v55, v18
	v_sub_f32_e32 v19, v56, v19
	v_add_f32_e32 v18, v19, v18
	v_add_f32_e32 v22, v21, v18
	v_mul_f32_e32 v24, v22, v22
	v_mov_b32_e32 v20, 0x3ecc95a3
	v_fmac_f32_e32 v20, 0x3e9b6dac, v24
	v_mov_b32_e32 v19, 0x3f2aaada
	v_fmac_f32_e32 v19, v24, v20
	v_cvt_f32_i32_e32 v20, v52
	v_sub_f32_e32 v21, v22, v21
	v_sub_f32_e32 v18, v18, v21
	v_ldexp_f32 v25, v18, 1
	v_mul_f32_e32 v21, v22, v24
	v_mov_b32_e32 v18, 0x3f317218
	s_mov_b32 s0, 0x3f317218
	v_pk_mul_f32 v[18:19], v[20:21], v[18:19]
	v_ldexp_f32 v23, v22, 1
	v_fma_f32 v22, v20, s0, -v18
	v_fmac_f32_e32 v22, 0xb102e308, v20
	v_pk_add_f32 v[20:21], v[18:19], v[22:23]
	v_sub_f32_e32 v23, v21, v23
	v_sub_f32_e32 v23, v19, v23
	v_add_f32_e32 v25, v25, v23
	v_mov_b32_e32 v24, v18
	v_pk_add_f32 v[18:19], v[20:21], v[18:19] neg_lo:[0,1] neg_hi:[0,1]
	v_pk_add_f32 v[52:53], v[20:21], v[24:25]
	v_mov_b32_e32 v19, v53
	v_mov_b32_e32 v23, v20
	v_pk_add_f32 v[54:55], v[22:23], v[18:19] neg_lo:[0,1] neg_hi:[0,1]
	v_pk_add_f32 v[18:19], v[22:23], v[18:19]
	v_mov_b32_e32 v22, v19
	v_pk_add_f32 v[56:57], v[22:23], v[20:21] neg_lo:[0,1] neg_hi:[0,1]
	v_mov_b32_e32 v23, v56
	v_pk_add_f32 v[58:59], v[52:53], v[22:23] neg_lo:[0,1] neg_hi:[0,1]
	v_mov_b32_e32 v18, v53
	v_mov_b32_e32 v52, v21
	v_mov_b32_e32 v53, v56
	v_mov_b32_e32 v55, v19
	v_pk_add_f32 v[18:19], v[18:19], v[52:53] neg_lo:[0,1] neg_hi:[0,1]
	v_mov_b32_e32 v24, v25
	v_mov_b32_e32 v25, v20
	v_pk_add_f32 v[18:19], v[24:25], v[18:19] neg_lo:[0,1] neg_hi:[0,1]
	v_mov_b32_e32 v58, v54
	v_pk_add_f32 v[20:21], v[58:59], v[18:19]
	v_mov_b32_e32 v24, v21
	v_pk_add_f32 v[24:25], v[20:21], v[24:25]
	v_pk_add_f32 v[22:23], v[22:23], v[24:25]
	v_mov_b32_e32 v21, v22
	v_pk_add_f32 v[52:53], v[20:21], v[54:55] neg_lo:[0,1] neg_hi:[0,1]
	v_mov_b32_e32 v19, v24
	v_sub_f32_e32 v20, v20, v52
	v_pk_add_f32 v[18:19], v[18:19], v[52:53] neg_lo:[0,1] neg_hi:[0,1]
	v_sub_f32_e32 v20, v54, v20
	v_add_f32_e32 v18, v18, v20
	v_cmp_eq_f32_e64 s[0:1], s2, v60
	s_mov_b32 s2, 0x33800000
	v_add_f32_e32 v18, v18, v19
	v_cmp_gt_f32_e64 s[2:3], s2, v60
	v_add_f32_e32 v18, v22, v18
	s_or_b64 s[0:1], s[2:3], s[0:1]
	v_cndmask_b32_e64 v56, v18, v60, s[0:1]
.LBB9_12:
	s_or_b64 exec, exec, s[14:15]
	v_mov_b32_e32 v18, s19
	v_add_co_u32_e64 v60, s[0:1], s18, v50
	v_addc_co_u32_e64 v61, s[0:1], v51, v18, s[0:1]
	global_load_dword v57, v[60:61], off
	s_mov_b32 s7, 0x3fb8aa3b
	s_mov_b32 s2, 0xc2ce8ed0
	;; [unrolled: 1-line block ×3, first 2 shown]
	v_mov_b32_e32 v62, 0
	v_mov_b32_e32 v59, 0x7f800000
	ds_read_b128 v[50:53], v62
	ds_read_b128 v[66:69], v62 offset:16
	ds_read_b128 v[22:25], v62 offset:32
	;; [unrolled: 1-line block ×5, first 2 shown]
	s_waitcnt vmcnt(0)
	v_pk_mul_f32 v[54:55], v[56:57], v[14:15] op_sel_hi:[0,1]
	v_mul_f32_e32 v58, 0x3fb8aa3b, v55
	v_pk_mul_f32 v[78:79], v[56:57], v[16:17] op_sel_hi:[0,1]
	v_mul_f32_e32 v65, 0x3fb8aa3b, v54
	v_fma_f32 v85, v55, s7, -v58
	v_rndne_f32_e32 v89, v58
	v_mul_f32_e32 v82, 0x3fb8aa3b, v79
	v_fma_f32 v86, v54, s7, -v65
	v_rndne_f32_e32 v90, v65
	v_fmac_f32_e32 v85, 0x32a5705f, v55
	v_sub_f32_e32 v58, v58, v89
	v_mul_f32_e32 v83, 0x3fb8aa3b, v78
	v_fma_f32 v87, v79, s7, -v82
	v_rndne_f32_e32 v91, v82
	v_fmac_f32_e32 v86, 0x32a5705f, v54
	v_sub_f32_e32 v65, v65, v90
	v_add_f32_e32 v58, v58, v85
	v_fma_f32 v88, v78, s7, -v83
	v_rndne_f32_e32 v92, v83
	v_fmac_f32_e32 v87, 0x32a5705f, v79
	v_sub_f32_e32 v82, v82, v91
	v_cvt_i32_f32_e32 v89, v89
	v_add_f32_e32 v65, v65, v86
	v_exp_f32_e32 v58, v58
	v_fmac_f32_e32 v88, 0x32a5705f, v78
	v_cvt_i32_f32_e32 v90, v90
	v_sub_f32_e32 v83, v83, v92
	v_add_f32_e32 v82, v82, v87
	v_exp_f32_e32 v65, v65
	v_cvt_i32_f32_e32 v91, v91
	v_add_f32_e32 v83, v83, v88
	v_exp_f32_e32 v82, v82
	v_cvt_i32_f32_e32 v92, v92
	v_exp_f32_e32 v83, v83
	v_ldexp_f32 v58, v58, v89
	v_cmp_ngt_f32_e64 s[0:1], s2, v55
	v_ldexp_f32 v65, v65, v90
	v_cndmask_b32_e64 v58, 0, v58, s[0:1]
	v_cmp_ngt_f32_e64 s[0:1], s2, v54
	v_ldexp_f32 v82, v82, v91
	v_cndmask_b32_e64 v65, 0, v65, s[0:1]
	;; [unrolled: 3-line block ×3, first 2 shown]
	v_cmp_ngt_f32_e64 s[0:1], s2, v78
	v_cndmask_b32_e64 v83, 0, v83, s[0:1]
	v_cmp_nlt_f32_e64 s[0:1], s3, v55
	v_pk_mul_f32 v[80:81], v[56:57], v[10:11] op_sel_hi:[0,1]
	v_cndmask_b32_e64 v55, v59, v58, s[0:1]
	v_cmp_nlt_f32_e64 s[0:1], s3, v54
	v_mul_f32_e32 v84, 0x3fb8aa3b, v81
	v_cndmask_b32_e64 v54, v59, v65, s[0:1]
	v_cmp_nlt_f32_e64 s[0:1], s3, v79
	v_mul_f32_e32 v58, v56, v57
	v_fma_f32 v93, v81, s7, -v84
	v_rndne_f32_e32 v94, v84
	v_cndmask_b32_e64 v79, v59, v82, s[0:1]
	v_cmp_nlt_f32_e64 s[0:1], s3, v78
	s_waitcnt lgkmcnt(5)
	v_pk_mul_f32 v[50:51], v[58:59], v[50:51] op_sel_hi:[0,1]
	v_fmac_f32_e32 v93, 0x32a5705f, v81
	v_sub_f32_e32 v84, v84, v94
	v_cndmask_b32_e64 v78, v59, v83, s[0:1]
	v_pk_mul_f32 v[52:53], v[58:59], v[52:53] op_sel_hi:[0,1]
	v_pk_fma_f32 v[50:51], v[26:27], v[54:55], v[50:51]
	v_mul_f32_e32 v27, 0x3fb8aa3b, v80
	v_add_f32_e32 v84, v84, v93
	v_pk_fma_f32 v[52:53], v[28:29], v[78:79], v[52:53]
	v_fma_f32 v28, v80, s7, -v27
	v_rndne_f32_e32 v29, v27
	v_cvt_i32_f32_e32 v94, v94
	v_exp_f32_e32 v84, v84
	v_fmac_f32_e32 v28, 0x32a5705f, v80
	v_sub_f32_e32 v27, v27, v29
	v_add_f32_e32 v27, v27, v28
	v_exp_f32_e32 v28, v27
	v_cvt_i32_f32_e32 v29, v29
	v_ldexp_f32 v26, v84, v94
	v_cmp_ngt_f32_e64 s[0:1], s2, v81
	v_cndmask_b32_e64 v26, 0, v26, s[0:1]
	v_cmp_nlt_f32_e64 s[0:1], s3, v81
	v_cndmask_b32_e64 v27, v59, v26, s[0:1]
	v_ldexp_f32 v26, v28, v29
	v_cmp_ngt_f32_e64 s[0:1], s2, v80
	v_pk_mul_f32 v[54:55], v[56:57], v[12:13] op_sel_hi:[0,1]
	v_cndmask_b32_e64 v26, 0, v26, s[0:1]
	v_cmp_nlt_f32_e64 s[0:1], s3, v80
	v_mul_f32_e32 v57, 0x3fb8aa3b, v55
	v_cndmask_b32_e64 v26, v59, v26, s[0:1]
	s_waitcnt lgkmcnt(4)
	v_pk_mul_f32 v[28:29], v[58:59], v[66:67] op_sel_hi:[0,1]
	v_fma_f32 v66, v55, s7, -v57
	v_rndne_f32_e32 v67, v57
	v_fmac_f32_e32 v66, 0x32a5705f, v55
	v_sub_f32_e32 v57, v57, v67
	v_pk_fma_f32 v[30:31], v[30:31], v[26:27], v[28:29]
	v_mul_f32_e32 v27, 0x3fb8aa3b, v54
	v_add_f32_e32 v57, v57, v66
	v_fma_f32 v28, v54, s7, -v27
	v_rndne_f32_e32 v29, v27
	v_exp_f32_e32 v57, v57
	v_cvt_i32_f32_e32 v66, v67
	v_fmac_f32_e32 v28, 0x32a5705f, v54
	v_sub_f32_e32 v27, v27, v29
	v_add_f32_e32 v27, v27, v28
	v_exp_f32_e32 v28, v27
	v_cvt_i32_f32_e32 v29, v29
	v_ldexp_f32 v26, v57, v66
	v_cmp_ngt_f32_e64 s[0:1], s2, v55
	v_cndmask_b32_e64 v26, 0, v26, s[0:1]
	v_cmp_nlt_f32_e64 s[0:1], s3, v55
	v_cndmask_b32_e64 v27, v59, v26, s[0:1]
	v_ldexp_f32 v26, v28, v29
	v_cmp_ngt_f32_e64 s[0:1], s2, v54
	v_cndmask_b32_e64 v26, 0, v26, s[0:1]
	v_cmp_nlt_f32_e64 s[0:1], s3, v54
	v_pk_mul_f32 v[54:55], v[56:57], v[6:7] op_sel_hi:[0,1]
	v_mul_f32_e32 v57, 0x3fb8aa3b, v55
	v_cndmask_b32_e64 v26, v59, v26, s[0:1]
	v_pk_mul_f32 v[28:29], v[58:59], v[68:69] op_sel_hi:[0,1]
	v_fma_f32 v66, v55, s7, -v57
	v_rndne_f32_e32 v67, v57
	v_fmac_f32_e32 v66, 0x32a5705f, v55
	v_sub_f32_e32 v57, v57, v67
	v_pk_fma_f32 v[32:33], v[32:33], v[26:27], v[28:29]
	v_mul_f32_e32 v27, 0x3fb8aa3b, v54
	v_add_f32_e32 v57, v57, v66
	v_fma_f32 v28, v54, s7, -v27
	v_rndne_f32_e32 v29, v27
	v_exp_f32_e32 v57, v57
	v_cvt_i32_f32_e32 v66, v67
	v_fmac_f32_e32 v28, 0x32a5705f, v54
	v_sub_f32_e32 v27, v27, v29
	v_add_f32_e32 v27, v27, v28
	v_exp_f32_e32 v28, v27
	v_cvt_i32_f32_e32 v29, v29
	v_ldexp_f32 v26, v57, v66
	v_cmp_ngt_f32_e64 s[0:1], s2, v55
	v_cndmask_b32_e64 v26, 0, v26, s[0:1]
	v_cmp_nlt_f32_e64 s[0:1], s3, v55
	v_cndmask_b32_e64 v27, v59, v26, s[0:1]
	v_ldexp_f32 v26, v28, v29
	v_cmp_ngt_f32_e64 s[0:1], s2, v54
	v_cndmask_b32_e64 v26, 0, v26, s[0:1]
	v_cmp_nlt_f32_e64 s[0:1], s3, v54
	v_cndmask_b32_e64 v26, v59, v26, s[0:1]
	s_waitcnt lgkmcnt(3)
	v_pk_mul_f32 v[22:23], v[58:59], v[22:23] op_sel_hi:[0,1]
	s_waitcnt lgkmcnt(1)
	v_fma_f32 v65, v70, v50, 0
	v_pk_fma_f32 v[40:41], v[40:41], v[26:27], v[22:23]
	v_pk_mul_f32 v[22:23], v[56:57], v[8:9] op_sel_hi:[0,1]
	v_fmac_f32_e32 v65, v71, v51
	v_mul_f32_e32 v26, 0x3fb8aa3b, v23
	v_fmac_f32_e32 v65, v72, v52
	v_rndne_f32_e32 v55, v26
	v_fmac_f32_e32 v65, v73, v53
	v_fma_f32 v54, v23, s7, -v26
	v_sub_f32_e32 v57, v26, v55
	ds_read_b128 v[26:29], v62 offset:96
	ds_read_b128 v[66:69], v62 offset:112
	s_waitcnt lgkmcnt(2)
	v_fmac_f32_e32 v65, v74, v30
	v_fmac_f32_e32 v54, 0x32a5705f, v23
	;; [unrolled: 1-line block ×3, first 2 shown]
	v_add_f32_e32 v54, v57, v54
	v_fmac_f32_e32 v65, v76, v32
	v_exp_f32_e32 v54, v54
	v_cvt_i32_f32_e32 v55, v55
	v_fmac_f32_e32 v65, v77, v33
	s_waitcnt lgkmcnt(1)
	v_fmac_f32_e32 v65, v26, v40
	v_fmac_f32_e32 v65, v27, v41
	v_mul_f32_e32 v27, 0x3fb8aa3b, v22
	v_ldexp_f32 v26, v54, v55
	v_fma_f32 v54, v22, s7, -v27
	v_rndne_f32_e32 v55, v27
	v_fmac_f32_e32 v54, 0x32a5705f, v22
	v_sub_f32_e32 v27, v27, v55
	v_add_f32_e32 v27, v27, v54
	v_exp_f32_e32 v27, v27
	v_cvt_i32_f32_e32 v54, v55
	v_cmp_ngt_f32_e64 s[0:1], s2, v23
	v_cndmask_b32_e64 v26, 0, v26, s[0:1]
	v_cmp_nlt_f32_e64 s[0:1], s3, v23
	v_cndmask_b32_e64 v23, v59, v26, s[0:1]
	v_ldexp_f32 v26, v27, v54
	v_cmp_ngt_f32_e64 s[0:1], s2, v22
	v_cndmask_b32_e64 v26, 0, v26, s[0:1]
	v_cmp_nlt_f32_e64 s[0:1], s3, v22
	v_cndmask_b32_e64 v22, v59, v26, s[0:1]
	v_pk_mul_f32 v[26:27], v[56:57], v[2:3] op_sel_hi:[0,1]
	v_mul_f32_e32 v54, 0x3fb8aa3b, v27
	v_fma_f32 v55, v27, s7, -v54
	v_rndne_f32_e32 v57, v54
	v_fmac_f32_e32 v55, 0x32a5705f, v27
	v_sub_f32_e32 v54, v54, v57
	v_pk_mul_f32 v[24:25], v[58:59], v[24:25] op_sel_hi:[0,1]
	v_add_f32_e32 v54, v54, v55
	v_exp_f32_e32 v62, v54
	v_pk_fma_f32 v[54:55], v[42:43], v[22:23], v[24:25]
	v_mul_f32_e32 v23, 0x3fb8aa3b, v26
	v_fma_f32 v24, v26, s7, -v23
	v_rndne_f32_e32 v25, v23
	v_cvt_i32_f32_e32 v57, v57
	v_fmac_f32_e32 v24, 0x32a5705f, v26
	v_sub_f32_e32 v23, v23, v25
	v_add_f32_e32 v23, v23, v24
	v_exp_f32_e32 v24, v23
	v_cvt_i32_f32_e32 v25, v25
	v_ldexp_f32 v22, v62, v57
	v_cmp_ngt_f32_e64 s[0:1], s2, v27
	v_cndmask_b32_e64 v22, 0, v22, s[0:1]
	v_cmp_nlt_f32_e64 s[0:1], s3, v27
	v_cndmask_b32_e64 v23, v59, v22, s[0:1]
	v_ldexp_f32 v22, v24, v25
	v_cmp_ngt_f32_e64 s[0:1], s2, v26
	v_pk_mul_f32 v[24:25], v[56:57], v[4:5] op_sel_hi:[0,1]
	v_cndmask_b32_e64 v22, 0, v22, s[0:1]
	v_cmp_nlt_f32_e64 s[0:1], s3, v26
	v_mul_f32_e32 v26, 0x3fb8aa3b, v25
	v_fmac_f32_e32 v65, v28, v54
	v_cndmask_b32_e64 v22, v59, v22, s[0:1]
	v_pk_mul_f32 v[18:19], v[58:59], v[18:19] op_sel_hi:[0,1]
	v_fma_f32 v27, v25, s7, -v26
	v_rndne_f32_e32 v28, v26
	v_fmac_f32_e32 v27, 0x32a5705f, v25
	v_sub_f32_e32 v26, v26, v28
	v_pk_fma_f32 v[56:57], v[44:45], v[22:23], v[18:19]
	v_mul_f32_e32 v19, 0x3fb8aa3b, v24
	v_add_f32_e32 v26, v26, v27
	v_fma_f32 v22, v24, s7, -v19
	v_rndne_f32_e32 v23, v19
	v_exp_f32_e32 v26, v26
	v_cvt_i32_f32_e32 v27, v28
	v_fmac_f32_e32 v22, 0x32a5705f, v24
	v_sub_f32_e32 v19, v19, v23
	v_add_f32_e32 v19, v19, v22
	v_exp_f32_e32 v22, v19
	v_cvt_i32_f32_e32 v23, v23
	v_ldexp_f32 v18, v26, v27
	v_cmp_ngt_f32_e64 s[0:1], s2, v25
	v_cndmask_b32_e64 v18, 0, v18, s[0:1]
	v_cmp_nlt_f32_e64 s[0:1], s3, v25
	v_cndmask_b32_e64 v19, v59, v18, s[0:1]
	v_ldexp_f32 v18, v22, v23
	v_cmp_ngt_f32_e64 s[0:1], s2, v24
	v_fmac_f32_e32 v65, v29, v55
	v_cndmask_b32_e64 v18, 0, v18, s[0:1]
	v_cmp_nlt_f32_e64 s[0:1], s3, v24
	s_waitcnt lgkmcnt(0)
	v_fmac_f32_e32 v65, v66, v56
	v_cndmask_b32_e64 v18, v59, v18, s[0:1]
	v_pk_mul_f32 v[20:21], v[58:59], v[20:21] op_sel_hi:[0,1]
	v_fmac_f32_e32 v65, v67, v57
	v_pk_fma_f32 v[58:59], v[46:47], v[18:19], v[20:21]
	s_ashr_i64 s[0:1], s[26:27], 29
	v_fmac_f32_e32 v65, v68, v58
	v_mov_b32_e32 v19, s1
	v_add_co_u32_e64 v18, s[0:1], s0, v38
	v_fmac_f32_e32 v65, v69, v59
	v_addc_co_u32_e64 v19, s[0:1], v39, v19, s[0:1]
	global_store_dword v[18:19], v65, off
	s_barrier
	s_and_saveexec_b64 s[0:1], vcc
	s_cbranch_execz .LBB9_14
; %bb.13:
	v_mad_i64_i32 v[18:19], s[2:3], s8, 12, v[0:1]
	global_load_dword v20, v[18:19], off
	v_mad_i64_i32 v[18:19], s[2:3], s10, 12, v[36:37]
	global_load_dword v18, v[18:19], off
	s_waitcnt vmcnt(1)
	ds_write_b32 v63, v20
	s_waitcnt vmcnt(0)
	ds_write_b32 v64, v18
.LBB9_14:
	s_or_b64 exec, exec, s[0:1]
	v_mov_b32_e32 v18, s17
	v_add_co_u32_e64 v26, s[0:1], s16, v48
	v_addc_co_u32_e64 v27, s[0:1], v49, v18, s[0:1]
	s_waitcnt lgkmcnt(0)
	s_barrier
	global_load_dword v62, v[26:27], off
	s_mov_b32 s0, 0x41a00000
	s_waitcnt vmcnt(0)
	v_cmp_ge_f32_e64 s[0:1], s0, v62
	s_and_saveexec_b64 s[14:15], s[0:1]
	s_cbranch_execz .LBB9_16
; %bb.15:
	v_mul_f32_e32 v18, 0x3fb8aa3b, v62
	s_mov_b32 s0, 0x3fb8aa3b
	v_rndne_f32_e32 v19, v18
	v_sub_f32_e32 v20, v18, v19
	v_fma_f32 v18, v62, s0, -v18
	v_fmac_f32_e32 v18, 0x32a5705f, v62
	v_add_f32_e32 v18, v20, v18
	v_exp_f32_e32 v18, v18
	v_cvt_i32_f32_e32 v19, v19
	s_mov_b32 s0, 0xc2ce8ed0
	v_cmp_ngt_f32_e64 s[0:1], s0, v62
	s_mov_b32 s2, 0x7f800000
	v_ldexp_f32 v18, v18, v19
	v_cndmask_b32_e64 v18, 0, v18, s[0:1]
	s_mov_b32 s0, 0x42b17218
	v_mov_b32_e32 v19, 0x7f800000
	v_cmp_nlt_f32_e64 s[0:1], s0, v62
	v_cndmask_b32_e64 v48, v19, v18, s[0:1]
	v_add_f32_e32 v20, 1.0, v48
	v_add_f32_e32 v18, -1.0, v20
	v_sub_f32_e32 v19, v18, v20
	v_add_f32_e32 v19, 1.0, v19
	v_sub_f32_e32 v18, v48, v18
	v_add_f32_e32 v21, v18, v19
	v_frexp_mant_f32_e32 v22, v20
	s_mov_b32 s0, 0x3f2aaaab
	v_cvt_f64_f32_e32 v[18:19], v20
	v_frexp_exp_i32_f64_e32 v18, v[18:19]
	v_cmp_gt_f32_e64 s[0:1], s0, v22
	v_subbrev_co_u32_e64 v28, s[0:1], 0, v18, s[0:1]
	v_sub_u32_e32 v18, 0, v28
	v_ldexp_f32 v19, v20, v18
	v_add_f32_e32 v20, -1.0, v19
	v_add_f32_e32 v22, 1.0, v19
	v_ldexp_f32 v18, v21, v18
	v_add_f32_e32 v21, 1.0, v20
	v_add_f32_e32 v23, -1.0, v22
	v_sub_f32_e32 v21, v19, v21
	v_sub_f32_e32 v19, v19, v23
	v_add_f32_e32 v21, v18, v21
	v_add_f32_e32 v18, v18, v19
	;; [unrolled: 1-line block ×3, first 2 shown]
	v_rcp_f32_e32 v43, v29
	v_sub_f32_e32 v19, v22, v29
	v_add_f32_e32 v42, v18, v19
	v_add_f32_e32 v19, v20, v21
	v_mul_f32_e32 v45, v19, v43
	v_sub_f32_e32 v18, v20, v19
	v_mul_f32_e32 v20, v29, v45
	v_fma_f32 v22, v45, v29, -v20
	v_fmac_f32_e32 v22, v45, v42
	v_add_f32_e32 v44, v21, v18
	v_add_f32_e32 v18, v20, v22
	v_sub_f32_e32 v21, v19, v18
	v_pk_add_f32 v[24:25], v[18:19], v[20:21] neg_lo:[0,1] neg_hi:[0,1]
	v_mov_b32_e32 v23, v18
	v_pk_add_f32 v[18:19], v[24:25], v[22:23] neg_lo:[0,1] neg_hi:[0,1]
	v_add_f32_e32 v19, v44, v19
	v_add_f32_e32 v18, v18, v19
	;; [unrolled: 1-line block ×3, first 2 shown]
	v_mul_f32_e32 v44, v43, v19
	v_mul_f32_e32 v20, v29, v44
	v_fma_f32 v22, v44, v29, -v20
	v_fmac_f32_e32 v22, v44, v42
	v_sub_f32_e32 v21, v21, v19
	v_add_f32_e32 v29, v18, v21
	v_add_f32_e32 v18, v20, v22
	v_sub_f32_e32 v21, v19, v18
	v_pk_add_f32 v[24:25], v[18:19], v[20:21] neg_lo:[0,1] neg_hi:[0,1]
	v_mov_b32_e32 v23, v18
	v_pk_add_f32 v[18:19], v[24:25], v[22:23] neg_lo:[0,1] neg_hi:[0,1]
	v_add_f32_e32 v19, v29, v19
	v_add_f32_e32 v18, v18, v19
	;; [unrolled: 1-line block ×4, first 2 shown]
	v_sub_f32_e32 v19, v21, v45
	v_mul_f32_e32 v18, v43, v18
	v_sub_f32_e32 v19, v44, v19
	v_add_f32_e32 v18, v19, v18
	v_add_f32_e32 v22, v21, v18
	v_mul_f32_e32 v24, v22, v22
	v_mov_b32_e32 v20, 0x3ecc95a3
	v_fmac_f32_e32 v20, 0x3e9b6dac, v24
	v_mov_b32_e32 v19, 0x3f2aaada
	v_fmac_f32_e32 v19, v24, v20
	v_cvt_f32_i32_e32 v20, v28
	v_sub_f32_e32 v21, v22, v21
	v_sub_f32_e32 v18, v18, v21
	v_ldexp_f32 v25, v18, 1
	v_mul_f32_e32 v21, v22, v24
	v_mov_b32_e32 v18, 0x3f317218
	s_mov_b32 s0, 0x3f317218
	v_pk_mul_f32 v[18:19], v[20:21], v[18:19]
	v_ldexp_f32 v23, v22, 1
	v_fma_f32 v22, v20, s0, -v18
	v_fmac_f32_e32 v22, 0xb102e308, v20
	v_pk_add_f32 v[20:21], v[18:19], v[22:23]
	v_sub_f32_e32 v23, v21, v23
	v_sub_f32_e32 v23, v19, v23
	v_add_f32_e32 v25, v25, v23
	v_mov_b32_e32 v24, v18
	v_pk_add_f32 v[18:19], v[20:21], v[18:19] neg_lo:[0,1] neg_hi:[0,1]
	v_pk_add_f32 v[28:29], v[20:21], v[24:25]
	v_mov_b32_e32 v19, v29
	v_mov_b32_e32 v23, v20
	v_pk_add_f32 v[42:43], v[22:23], v[18:19] neg_lo:[0,1] neg_hi:[0,1]
	v_pk_add_f32 v[18:19], v[22:23], v[18:19]
	v_mov_b32_e32 v22, v19
	v_pk_add_f32 v[44:45], v[22:23], v[20:21] neg_lo:[0,1] neg_hi:[0,1]
	v_mov_b32_e32 v23, v44
	v_pk_add_f32 v[46:47], v[28:29], v[22:23] neg_lo:[0,1] neg_hi:[0,1]
	v_mov_b32_e32 v18, v29
	v_mov_b32_e32 v28, v21
	;; [unrolled: 1-line block ×4, first 2 shown]
	v_pk_add_f32 v[18:19], v[18:19], v[28:29] neg_lo:[0,1] neg_hi:[0,1]
	v_mov_b32_e32 v24, v25
	v_mov_b32_e32 v25, v20
	v_pk_add_f32 v[18:19], v[24:25], v[18:19] neg_lo:[0,1] neg_hi:[0,1]
	v_mov_b32_e32 v46, v42
	v_pk_add_f32 v[20:21], v[46:47], v[18:19]
	v_mov_b32_e32 v24, v21
	v_pk_add_f32 v[24:25], v[20:21], v[24:25]
	v_pk_add_f32 v[22:23], v[22:23], v[24:25]
	v_mov_b32_e32 v21, v22
	v_pk_add_f32 v[28:29], v[20:21], v[42:43] neg_lo:[0,1] neg_hi:[0,1]
	v_mov_b32_e32 v19, v24
	v_sub_f32_e32 v20, v20, v28
	v_pk_add_f32 v[18:19], v[18:19], v[28:29] neg_lo:[0,1] neg_hi:[0,1]
	v_sub_f32_e32 v20, v42, v20
	v_add_f32_e32 v18, v18, v20
	v_cmp_eq_f32_e64 s[0:1], s2, v48
	s_mov_b32 s2, 0x33800000
	v_add_f32_e32 v18, v18, v19
	v_cmp_gt_f32_e64 s[2:3], s2, v48
	v_add_f32_e32 v18, v22, v18
	s_or_b64 s[0:1], s[2:3], s[0:1]
	v_cndmask_b32_e64 v62, v18, v48, s[0:1]
.LBB9_16:
	s_or_b64 exec, exec, s[14:15]
	v_mov_b32_e32 v18, s19
	v_add_co_u32_e64 v28, s[0:1], s18, v60
	v_addc_co_u32_e64 v29, s[0:1], v61, v18, s[0:1]
	global_load_dword v60, v[28:29], off
	v_pk_mul_f32 v[74:75], v[62:63], v[14:15] op_sel_hi:[0,1]
	v_mul_f32_e32 v80, 0x3fb8aa3b, v75
	v_pk_mul_f32 v[76:77], v[62:63], v[16:17] op_sel_hi:[0,1]
	v_mul_f32_e32 v81, 0x3fb8aa3b, v74
	v_fma_f32 v85, v75, s7, -v80
	v_rndne_f32_e32 v89, v80
	v_mul_f32_e32 v82, 0x3fb8aa3b, v77
	v_fma_f32 v86, v74, s7, -v81
	v_rndne_f32_e32 v90, v81
	v_fmac_f32_e32 v85, 0x32a5705f, v75
	v_sub_f32_e32 v80, v80, v89
	v_mul_f32_e32 v83, 0x3fb8aa3b, v76
	v_fma_f32 v87, v77, s7, -v82
	v_rndne_f32_e32 v91, v82
	v_fmac_f32_e32 v86, 0x32a5705f, v74
	v_sub_f32_e32 v81, v81, v90
	v_add_f32_e32 v80, v80, v85
	v_fma_f32 v88, v76, s7, -v83
	v_rndne_f32_e32 v92, v83
	v_fmac_f32_e32 v87, 0x32a5705f, v77
	v_cvt_i32_f32_e32 v89, v89
	v_sub_f32_e32 v82, v82, v91
	v_add_f32_e32 v81, v81, v86
	v_exp_f32_e32 v80, v80
	v_fmac_f32_e32 v88, 0x32a5705f, v76
	v_cvt_i32_f32_e32 v90, v90
	v_sub_f32_e32 v83, v83, v92
	v_add_f32_e32 v82, v82, v87
	v_exp_f32_e32 v81, v81
	v_cvt_i32_f32_e32 v91, v91
	v_add_f32_e32 v83, v83, v88
	v_exp_f32_e32 v82, v82
	s_mov_b32 s2, 0xc2ce8ed0
	v_cvt_i32_f32_e32 v92, v92
	v_exp_f32_e32 v83, v83
	v_ldexp_f32 v80, v80, v89
	v_cmp_ngt_f32_e64 s[0:1], s2, v75
	v_ldexp_f32 v81, v81, v90
	v_cndmask_b32_e64 v80, 0, v80, s[0:1]
	v_cmp_ngt_f32_e64 s[0:1], s2, v74
	v_ldexp_f32 v82, v82, v91
	v_cndmask_b32_e64 v81, 0, v81, s[0:1]
	v_cmp_ngt_f32_e64 s[0:1], s2, v77
	s_mov_b32 s3, 0x42b17218
	v_ldexp_f32 v83, v83, v92
	v_cndmask_b32_e64 v82, 0, v82, s[0:1]
	v_cmp_ngt_f32_e64 s[0:1], s2, v76
	v_mov_b32_e32 v65, 0
	v_mov_b32_e32 v61, 0x7f800000
	v_cndmask_b32_e64 v83, 0, v83, s[0:1]
	v_cmp_nlt_f32_e64 s[0:1], s3, v75
	v_pk_mul_f32 v[78:79], v[62:63], v[10:11] op_sel_hi:[0,1]
	ds_read_b128 v[42:45], v65
	ds_read_b128 v[46:49], v65 offset:16
	ds_read_b128 v[22:25], v65 offset:32
	;; [unrolled: 1-line block ×3, first 2 shown]
	v_cndmask_b32_e64 v75, v61, v80, s[0:1]
	v_cmp_nlt_f32_e64 s[0:1], s3, v74
	v_mul_f32_e32 v84, 0x3fb8aa3b, v79
	v_cndmask_b32_e64 v74, v61, v81, s[0:1]
	v_cmp_nlt_f32_e64 s[0:1], s3, v77
	v_fma_f32 v93, v79, s7, -v84
	v_rndne_f32_e32 v94, v84
	v_cndmask_b32_e64 v77, v61, v82, s[0:1]
	v_cmp_nlt_f32_e64 s[0:1], s3, v76
	v_fmac_f32_e32 v93, 0x32a5705f, v79
	v_sub_f32_e32 v84, v84, v94
	v_cndmask_b32_e64 v76, v61, v83, s[0:1]
	v_add_f32_e32 v84, v84, v93
	v_cvt_i32_f32_e32 v94, v94
	v_exp_f32_e32 v84, v84
	ds_read_b128 v[66:69], v65 offset:64
	ds_read_b128 v[70:73], v65 offset:80
	v_cmp_ngt_f32_e64 s[0:1], s2, v79
	s_waitcnt vmcnt(0)
	v_mul_f32_e32 v60, v62, v60
	s_waitcnt lgkmcnt(5)
	v_pk_mul_f32 v[42:43], v[60:61], v[42:43] op_sel_hi:[0,1]
	v_pk_mul_f32 v[44:45], v[60:61], v[44:45] op_sel_hi:[0,1]
	v_pk_fma_f32 v[42:43], v[50:51], v[74:75], v[42:43]
	v_mul_f32_e32 v51, 0x3fb8aa3b, v78
	v_pk_fma_f32 v[44:45], v[52:53], v[76:77], v[44:45]
	v_fma_f32 v52, v78, s7, -v51
	v_rndne_f32_e32 v53, v51
	v_fmac_f32_e32 v52, 0x32a5705f, v78
	v_sub_f32_e32 v51, v51, v53
	v_add_f32_e32 v51, v51, v52
	v_exp_f32_e32 v52, v51
	v_cvt_i32_f32_e32 v53, v53
	v_ldexp_f32 v50, v84, v94
	v_cndmask_b32_e64 v50, 0, v50, s[0:1]
	v_cmp_nlt_f32_e64 s[0:1], s3, v79
	s_waitcnt lgkmcnt(1)
	v_fma_f32 v74, v66, v42, 0
	v_cndmask_b32_e64 v51, v61, v50, s[0:1]
	v_ldexp_f32 v50, v52, v53
	v_cmp_ngt_f32_e64 s[0:1], s2, v78
	v_pk_mul_f32 v[52:53], v[62:63], v[12:13] op_sel_hi:[0,1]
	v_fmac_f32_e32 v74, v67, v43
	v_cndmask_b32_e64 v50, 0, v50, s[0:1]
	v_cmp_nlt_f32_e64 s[0:1], s3, v78
	v_mul_f32_e32 v66, 0x3fb8aa3b, v53
	v_fmac_f32_e32 v74, v68, v44
	v_cndmask_b32_e64 v50, v61, v50, s[0:1]
	v_pk_mul_f32 v[46:47], v[60:61], v[46:47] op_sel_hi:[0,1]
	v_fma_f32 v67, v53, s7, -v66
	v_rndne_f32_e32 v68, v66
	v_fmac_f32_e32 v67, 0x32a5705f, v53
	v_sub_f32_e32 v66, v66, v68
	v_pk_fma_f32 v[46:47], v[30:31], v[50:51], v[46:47]
	v_mul_f32_e32 v31, 0x3fb8aa3b, v52
	v_add_f32_e32 v66, v66, v67
	v_fma_f32 v50, v52, s7, -v31
	v_rndne_f32_e32 v51, v31
	v_exp_f32_e32 v66, v66
	v_cvt_i32_f32_e32 v67, v68
	v_fmac_f32_e32 v50, 0x32a5705f, v52
	v_sub_f32_e32 v31, v31, v51
	v_add_f32_e32 v31, v31, v50
	v_exp_f32_e32 v50, v31
	v_cvt_i32_f32_e32 v51, v51
	v_ldexp_f32 v30, v66, v67
	v_cmp_ngt_f32_e64 s[0:1], s2, v53
	v_cndmask_b32_e64 v30, 0, v30, s[0:1]
	v_cmp_nlt_f32_e64 s[0:1], s3, v53
	v_cndmask_b32_e64 v31, v61, v30, s[0:1]
	v_ldexp_f32 v30, v50, v51
	v_cmp_ngt_f32_e64 s[0:1], s2, v52
	v_pk_mul_f32 v[50:51], v[62:63], v[6:7] op_sel_hi:[0,1]
	v_cndmask_b32_e64 v30, 0, v30, s[0:1]
	v_cmp_nlt_f32_e64 s[0:1], s3, v52
	v_mul_f32_e32 v52, 0x3fb8aa3b, v51
	v_cndmask_b32_e64 v30, v61, v30, s[0:1]
	v_pk_mul_f32 v[48:49], v[60:61], v[48:49] op_sel_hi:[0,1]
	v_fma_f32 v53, v51, s7, -v52
	v_rndne_f32_e32 v66, v52
	v_fmac_f32_e32 v53, 0x32a5705f, v51
	v_sub_f32_e32 v52, v52, v66
	v_pk_fma_f32 v[48:49], v[32:33], v[30:31], v[48:49]
	v_mul_f32_e32 v31, 0x3fb8aa3b, v50
	v_add_f32_e32 v52, v52, v53
	v_fma_f32 v32, v50, s7, -v31
	v_rndne_f32_e32 v33, v31
	v_exp_f32_e32 v52, v52
	v_cvt_i32_f32_e32 v53, v66
	v_fmac_f32_e32 v32, 0x32a5705f, v50
	v_sub_f32_e32 v31, v31, v33
	v_add_f32_e32 v31, v31, v32
	v_exp_f32_e32 v32, v31
	v_cvt_i32_f32_e32 v33, v33
	v_ldexp_f32 v30, v52, v53
	v_cmp_ngt_f32_e64 s[0:1], s2, v51
	v_cndmask_b32_e64 v30, 0, v30, s[0:1]
	v_cmp_nlt_f32_e64 s[0:1], s3, v51
	v_cndmask_b32_e64 v31, v61, v30, s[0:1]
	v_ldexp_f32 v30, v32, v33
	v_cmp_ngt_f32_e64 s[0:1], s2, v50
	v_cndmask_b32_e64 v30, 0, v30, s[0:1]
	v_cmp_nlt_f32_e64 s[0:1], s3, v50
	v_cndmask_b32_e64 v30, v61, v30, s[0:1]
	v_pk_mul_f32 v[22:23], v[60:61], v[22:23] op_sel_hi:[0,1]
	v_pk_fma_f32 v[50:51], v[40:41], v[30:31], v[22:23]
	v_pk_mul_f32 v[22:23], v[62:63], v[8:9] op_sel_hi:[0,1]
	v_mul_f32_e32 v30, 0x3fb8aa3b, v23
	v_rndne_f32_e32 v41, v30
	v_fmac_f32_e32 v74, v69, v45
	v_fma_f32 v40, v23, s7, -v30
	v_sub_f32_e32 v52, v30, v41
	ds_read_b128 v[30:33], v65 offset:96
	ds_read_b128 v[66:69], v65 offset:112
	s_waitcnt lgkmcnt(2)
	v_fmac_f32_e32 v74, v70, v46
	v_fmac_f32_e32 v40, 0x32a5705f, v23
	;; [unrolled: 1-line block ×3, first 2 shown]
	v_add_f32_e32 v40, v52, v40
	v_fmac_f32_e32 v74, v72, v48
	v_exp_f32_e32 v40, v40
	v_cvt_i32_f32_e32 v41, v41
	v_fmac_f32_e32 v74, v73, v49
	s_waitcnt lgkmcnt(1)
	v_fmac_f32_e32 v74, v30, v50
	v_fmac_f32_e32 v74, v31, v51
	v_mul_f32_e32 v31, 0x3fb8aa3b, v22
	v_ldexp_f32 v30, v40, v41
	v_fma_f32 v40, v22, s7, -v31
	v_rndne_f32_e32 v41, v31
	v_fmac_f32_e32 v40, 0x32a5705f, v22
	v_sub_f32_e32 v31, v31, v41
	v_add_f32_e32 v31, v31, v40
	v_exp_f32_e32 v31, v31
	v_cvt_i32_f32_e32 v40, v41
	v_cmp_ngt_f32_e64 s[0:1], s2, v23
	v_cndmask_b32_e64 v30, 0, v30, s[0:1]
	v_cmp_nlt_f32_e64 s[0:1], s3, v23
	v_cndmask_b32_e64 v23, v61, v30, s[0:1]
	v_ldexp_f32 v30, v31, v40
	v_cmp_ngt_f32_e64 s[0:1], s2, v22
	v_cndmask_b32_e64 v30, 0, v30, s[0:1]
	v_cmp_nlt_f32_e64 s[0:1], s3, v22
	v_pk_mul_f32 v[40:41], v[62:63], v[2:3] op_sel_hi:[0,1]
	v_cndmask_b32_e64 v22, v61, v30, s[0:1]
	v_mul_f32_e32 v30, 0x3fb8aa3b, v41
	v_fma_f32 v31, v41, s7, -v30
	v_rndne_f32_e32 v52, v30
	v_fmac_f32_e32 v31, 0x32a5705f, v41
	v_sub_f32_e32 v30, v30, v52
	v_pk_mul_f32 v[24:25], v[60:61], v[24:25] op_sel_hi:[0,1]
	v_add_f32_e32 v30, v30, v31
	v_exp_f32_e32 v53, v30
	v_pk_fma_f32 v[30:31], v[54:55], v[22:23], v[24:25]
	v_mul_f32_e32 v23, 0x3fb8aa3b, v40
	v_fma_f32 v24, v40, s7, -v23
	v_rndne_f32_e32 v25, v23
	v_cvt_i32_f32_e32 v52, v52
	v_fmac_f32_e32 v24, 0x32a5705f, v40
	v_sub_f32_e32 v23, v23, v25
	v_add_f32_e32 v23, v23, v24
	v_exp_f32_e32 v24, v23
	v_cvt_i32_f32_e32 v25, v25
	v_ldexp_f32 v22, v53, v52
	v_cmp_ngt_f32_e64 s[0:1], s2, v41
	v_cndmask_b32_e64 v22, 0, v22, s[0:1]
	v_cmp_nlt_f32_e64 s[0:1], s3, v41
	v_cndmask_b32_e64 v23, v61, v22, s[0:1]
	v_ldexp_f32 v22, v24, v25
	v_pk_mul_f32 v[24:25], v[62:63], v[4:5] op_sel_hi:[0,1]
	v_fmac_f32_e32 v74, v32, v30
	v_cmp_ngt_f32_e64 s[0:1], s2, v40
	v_mul_f32_e32 v32, 0x3fb8aa3b, v25
	v_fmac_f32_e32 v74, v33, v31
	v_cndmask_b32_e64 v22, 0, v22, s[0:1]
	v_cmp_nlt_f32_e64 s[0:1], s3, v40
	v_fma_f32 v33, v25, s7, -v32
	v_rndne_f32_e32 v40, v32
	v_fmac_f32_e32 v33, 0x32a5705f, v25
	v_sub_f32_e32 v32, v32, v40
	v_cndmask_b32_e64 v22, v61, v22, s[0:1]
	v_pk_mul_f32 v[18:19], v[60:61], v[18:19] op_sel_hi:[0,1]
	v_add_f32_e32 v32, v32, v33
	v_exp_f32_e32 v41, v32
	v_pk_fma_f32 v[32:33], v[56:57], v[22:23], v[18:19]
	v_mul_f32_e32 v19, 0x3fb8aa3b, v24
	v_fma_f32 v22, v24, s7, -v19
	v_rndne_f32_e32 v23, v19
	v_cvt_i32_f32_e32 v40, v40
	v_fmac_f32_e32 v22, 0x32a5705f, v24
	v_sub_f32_e32 v19, v19, v23
	v_add_f32_e32 v19, v19, v22
	v_exp_f32_e32 v22, v19
	v_cvt_i32_f32_e32 v23, v23
	v_ldexp_f32 v18, v41, v40
	v_cmp_ngt_f32_e64 s[0:1], s2, v25
	v_cndmask_b32_e64 v18, 0, v18, s[0:1]
	v_cmp_nlt_f32_e64 s[0:1], s3, v25
	v_cndmask_b32_e64 v19, v61, v18, s[0:1]
	v_ldexp_f32 v18, v22, v23
	v_cmp_ngt_f32_e64 s[0:1], s2, v24
	v_cndmask_b32_e64 v18, 0, v18, s[0:1]
	v_cmp_nlt_f32_e64 s[0:1], s3, v24
	s_waitcnt lgkmcnt(0)
	v_fmac_f32_e32 v74, v66, v32
	v_cndmask_b32_e64 v18, v61, v18, s[0:1]
	v_pk_mul_f32 v[20:21], v[60:61], v[20:21] op_sel_hi:[0,1]
	v_fmac_f32_e32 v74, v67, v33
	v_pk_fma_f32 v[40:41], v[58:59], v[18:19], v[20:21]
	v_fmac_f32_e32 v74, v68, v40
	v_fmac_f32_e32 v74, v69, v41
	v_mad_i64_i32 v[18:19], s[0:1], s20, 12, v[38:39]
	global_store_dword v[18:19], v74, off
	s_barrier
	s_and_saveexec_b64 s[2:3], vcc
	s_cbranch_execz .LBB9_18
; %bb.17:
	s_lshl_b64 s[0:1], s[8:9], 4
	v_mov_b32_e32 v19, s1
	v_add_co_u32_e64 v18, s[0:1], s0, v0
	v_addc_co_u32_e64 v19, s[0:1], v1, v19, s[0:1]
	s_lshl_b64 s[0:1], s[10:11], 4
	global_load_dword v20, v[18:19], off
	v_mov_b32_e32 v19, s1
	v_add_co_u32_e64 v18, s[0:1], s0, v36
	v_addc_co_u32_e64 v19, s[0:1], v37, v19, s[0:1]
	global_load_dword v18, v[18:19], off
	s_waitcnt vmcnt(1)
	ds_write_b32 v63, v20
	s_waitcnt vmcnt(0)
	ds_write_b32 v64, v18
.LBB9_18:
	s_or_b64 exec, exec, s[2:3]
	v_mov_b32_e32 v18, s17
	v_add_co_u32_e64 v26, s[0:1], s16, v26
	v_addc_co_u32_e64 v27, s[0:1], v27, v18, s[0:1]
	s_waitcnt lgkmcnt(0)
	s_barrier
	global_load_dword v52, v[26:27], off
	s_mov_b32 s0, 0x41a00000
	s_waitcnt vmcnt(0)
	v_cmp_ge_f32_e64 s[0:1], s0, v52
	s_and_saveexec_b64 s[14:15], s[0:1]
	s_cbranch_execz .LBB9_20
; %bb.19:
	v_mul_f32_e32 v18, 0x3fb8aa3b, v52
	s_mov_b32 s0, 0x3fb8aa3b
	v_rndne_f32_e32 v19, v18
	v_sub_f32_e32 v20, v18, v19
	v_fma_f32 v18, v52, s0, -v18
	v_fmac_f32_e32 v18, 0x32a5705f, v52
	v_add_f32_e32 v18, v20, v18
	v_exp_f32_e32 v18, v18
	v_cvt_i32_f32_e32 v19, v19
	s_mov_b32 s0, 0xc2ce8ed0
	v_cmp_ngt_f32_e64 s[0:1], s0, v52
	s_mov_b32 s2, 0x7f800000
	v_ldexp_f32 v18, v18, v19
	v_cndmask_b32_e64 v18, 0, v18, s[0:1]
	s_mov_b32 s0, 0x42b17218
	v_mov_b32_e32 v19, 0x7f800000
	v_cmp_nlt_f32_e64 s[0:1], s0, v52
	v_cndmask_b32_e64 v60, v19, v18, s[0:1]
	v_add_f32_e32 v20, 1.0, v60
	v_add_f32_e32 v18, -1.0, v20
	v_sub_f32_e32 v19, v18, v20
	v_add_f32_e32 v19, 1.0, v19
	v_sub_f32_e32 v18, v60, v18
	v_add_f32_e32 v21, v18, v19
	v_frexp_mant_f32_e32 v22, v20
	s_mov_b32 s0, 0x3f2aaaab
	v_cvt_f64_f32_e32 v[18:19], v20
	v_frexp_exp_i32_f64_e32 v18, v[18:19]
	v_cmp_gt_f32_e64 s[0:1], s0, v22
	v_subbrev_co_u32_e64 v52, s[0:1], 0, v18, s[0:1]
	v_sub_u32_e32 v18, 0, v52
	v_ldexp_f32 v19, v20, v18
	v_add_f32_e32 v20, -1.0, v19
	v_add_f32_e32 v22, 1.0, v19
	v_ldexp_f32 v18, v21, v18
	v_add_f32_e32 v21, 1.0, v20
	v_add_f32_e32 v23, -1.0, v22
	v_sub_f32_e32 v21, v19, v21
	v_sub_f32_e32 v19, v19, v23
	v_add_f32_e32 v21, v18, v21
	v_add_f32_e32 v18, v18, v19
	;; [unrolled: 1-line block ×3, first 2 shown]
	v_rcp_f32_e32 v55, v53
	v_sub_f32_e32 v19, v22, v53
	v_add_f32_e32 v54, v18, v19
	v_add_f32_e32 v19, v20, v21
	v_mul_f32_e32 v57, v19, v55
	v_sub_f32_e32 v18, v20, v19
	v_mul_f32_e32 v20, v53, v57
	v_fma_f32 v22, v57, v53, -v20
	v_fmac_f32_e32 v22, v57, v54
	v_add_f32_e32 v56, v21, v18
	v_add_f32_e32 v18, v20, v22
	v_sub_f32_e32 v21, v19, v18
	v_pk_add_f32 v[24:25], v[18:19], v[20:21] neg_lo:[0,1] neg_hi:[0,1]
	v_mov_b32_e32 v23, v18
	v_pk_add_f32 v[18:19], v[24:25], v[22:23] neg_lo:[0,1] neg_hi:[0,1]
	v_add_f32_e32 v19, v56, v19
	v_add_f32_e32 v18, v18, v19
	;; [unrolled: 1-line block ×3, first 2 shown]
	v_mul_f32_e32 v56, v55, v19
	v_mul_f32_e32 v20, v53, v56
	v_fma_f32 v22, v56, v53, -v20
	v_fmac_f32_e32 v22, v56, v54
	v_sub_f32_e32 v21, v21, v19
	v_add_f32_e32 v53, v18, v21
	v_add_f32_e32 v18, v20, v22
	v_sub_f32_e32 v21, v19, v18
	v_pk_add_f32 v[24:25], v[18:19], v[20:21] neg_lo:[0,1] neg_hi:[0,1]
	v_mov_b32_e32 v23, v18
	v_pk_add_f32 v[18:19], v[24:25], v[22:23] neg_lo:[0,1] neg_hi:[0,1]
	v_add_f32_e32 v19, v53, v19
	v_add_f32_e32 v18, v18, v19
	;; [unrolled: 1-line block ×4, first 2 shown]
	v_sub_f32_e32 v19, v21, v57
	v_mul_f32_e32 v18, v55, v18
	v_sub_f32_e32 v19, v56, v19
	v_add_f32_e32 v18, v19, v18
	v_add_f32_e32 v22, v21, v18
	v_mul_f32_e32 v24, v22, v22
	v_mov_b32_e32 v20, 0x3ecc95a3
	v_fmac_f32_e32 v20, 0x3e9b6dac, v24
	v_mov_b32_e32 v19, 0x3f2aaada
	v_fmac_f32_e32 v19, v24, v20
	v_cvt_f32_i32_e32 v20, v52
	v_sub_f32_e32 v21, v22, v21
	v_sub_f32_e32 v18, v18, v21
	v_ldexp_f32 v25, v18, 1
	v_mul_f32_e32 v21, v22, v24
	v_mov_b32_e32 v18, 0x3f317218
	s_mov_b32 s0, 0x3f317218
	v_pk_mul_f32 v[18:19], v[20:21], v[18:19]
	v_ldexp_f32 v23, v22, 1
	v_fma_f32 v22, v20, s0, -v18
	v_fmac_f32_e32 v22, 0xb102e308, v20
	v_pk_add_f32 v[20:21], v[18:19], v[22:23]
	v_sub_f32_e32 v23, v21, v23
	v_sub_f32_e32 v23, v19, v23
	v_add_f32_e32 v25, v25, v23
	v_mov_b32_e32 v24, v18
	v_pk_add_f32 v[18:19], v[20:21], v[18:19] neg_lo:[0,1] neg_hi:[0,1]
	v_pk_add_f32 v[52:53], v[20:21], v[24:25]
	v_mov_b32_e32 v19, v53
	v_mov_b32_e32 v23, v20
	v_pk_add_f32 v[54:55], v[22:23], v[18:19] neg_lo:[0,1] neg_hi:[0,1]
	v_pk_add_f32 v[18:19], v[22:23], v[18:19]
	v_mov_b32_e32 v22, v19
	v_pk_add_f32 v[56:57], v[22:23], v[20:21] neg_lo:[0,1] neg_hi:[0,1]
	v_mov_b32_e32 v23, v56
	v_pk_add_f32 v[58:59], v[52:53], v[22:23] neg_lo:[0,1] neg_hi:[0,1]
	v_mov_b32_e32 v18, v53
	v_mov_b32_e32 v52, v21
	;; [unrolled: 1-line block ×4, first 2 shown]
	v_pk_add_f32 v[18:19], v[18:19], v[52:53] neg_lo:[0,1] neg_hi:[0,1]
	v_mov_b32_e32 v24, v25
	v_mov_b32_e32 v25, v20
	v_pk_add_f32 v[18:19], v[24:25], v[18:19] neg_lo:[0,1] neg_hi:[0,1]
	v_mov_b32_e32 v58, v54
	v_pk_add_f32 v[20:21], v[58:59], v[18:19]
	v_mov_b32_e32 v24, v21
	v_pk_add_f32 v[24:25], v[20:21], v[24:25]
	v_pk_add_f32 v[22:23], v[22:23], v[24:25]
	v_mov_b32_e32 v21, v22
	v_pk_add_f32 v[52:53], v[20:21], v[54:55] neg_lo:[0,1] neg_hi:[0,1]
	v_mov_b32_e32 v19, v24
	v_sub_f32_e32 v20, v20, v52
	v_pk_add_f32 v[18:19], v[18:19], v[52:53] neg_lo:[0,1] neg_hi:[0,1]
	v_sub_f32_e32 v20, v54, v20
	v_add_f32_e32 v18, v18, v20
	v_cmp_eq_f32_e64 s[0:1], s2, v60
	s_mov_b32 s2, 0x33800000
	v_add_f32_e32 v18, v18, v19
	v_cmp_gt_f32_e64 s[2:3], s2, v60
	v_add_f32_e32 v18, v22, v18
	s_or_b64 s[0:1], s[2:3], s[0:1]
	v_cndmask_b32_e64 v52, v18, v60, s[0:1]
.LBB9_20:
	s_or_b64 exec, exec, s[14:15]
	v_mov_b32_e32 v18, s19
	v_add_co_u32_e64 v28, s[0:1], s18, v28
	v_addc_co_u32_e64 v29, s[0:1], v29, v18, s[0:1]
	global_load_dword v62, v[28:29], off
	v_pk_mul_f32 v[54:55], v[52:53], v[14:15] op_sel_hi:[0,1]
	v_mov_b32_e32 v53, 0x7f800000
	v_mul_f32_e32 v80, 0x3fb8aa3b, v55
	v_pk_mul_f32 v[60:61], v[52:53], v[16:17] op_sel_hi:[0,1]
	v_mul_f32_e32 v81, 0x3fb8aa3b, v54
	v_fma_f32 v85, v55, s7, -v80
	v_rndne_f32_e32 v89, v80
	v_mul_f32_e32 v82, 0x3fb8aa3b, v61
	v_fma_f32 v86, v54, s7, -v81
	v_rndne_f32_e32 v90, v81
	v_fmac_f32_e32 v85, 0x32a5705f, v55
	v_sub_f32_e32 v80, v80, v89
	v_mul_f32_e32 v83, 0x3fb8aa3b, v60
	v_fma_f32 v87, v61, s7, -v82
	v_rndne_f32_e32 v91, v82
	v_fmac_f32_e32 v86, 0x32a5705f, v54
	v_sub_f32_e32 v81, v81, v90
	v_add_f32_e32 v80, v80, v85
	v_fma_f32 v88, v60, s7, -v83
	v_rndne_f32_e32 v92, v83
	v_fmac_f32_e32 v87, 0x32a5705f, v61
	v_cvt_i32_f32_e32 v89, v89
	v_sub_f32_e32 v82, v82, v91
	v_add_f32_e32 v81, v81, v86
	v_exp_f32_e32 v80, v80
	v_fmac_f32_e32 v88, 0x32a5705f, v60
	v_cvt_i32_f32_e32 v90, v90
	v_sub_f32_e32 v83, v83, v92
	v_add_f32_e32 v82, v82, v87
	v_exp_f32_e32 v81, v81
	v_cvt_i32_f32_e32 v91, v91
	v_add_f32_e32 v83, v83, v88
	v_exp_f32_e32 v82, v82
	s_mov_b32 s2, 0xc2ce8ed0
	v_cvt_i32_f32_e32 v92, v92
	v_exp_f32_e32 v83, v83
	v_ldexp_f32 v80, v80, v89
	v_cmp_ngt_f32_e64 s[0:1], s2, v55
	v_ldexp_f32 v81, v81, v90
	v_cndmask_b32_e64 v80, 0, v80, s[0:1]
	v_cmp_ngt_f32_e64 s[0:1], s2, v54
	v_ldexp_f32 v82, v82, v91
	v_cndmask_b32_e64 v85, 0, v81, s[0:1]
	v_cmp_ngt_f32_e64 s[0:1], s2, v61
	s_mov_b32 s3, 0x42b17218
	v_ldexp_f32 v83, v83, v92
	v_cndmask_b32_e64 v82, 0, v82, s[0:1]
	v_cmp_ngt_f32_e64 s[0:1], s2, v60
	v_mov_b32_e32 v65, 0
	v_cndmask_b32_e64 v83, 0, v83, s[0:1]
	v_cmp_nlt_f32_e64 s[0:1], s3, v55
	v_pk_mul_f32 v[78:79], v[52:53], v[10:11] op_sel_hi:[0,1]
	ds_read_b128 v[56:59], v65
	ds_read_b128 v[66:69], v65 offset:16
	ds_read_b128 v[22:25], v65 offset:32
	;; [unrolled: 1-line block ×3, first 2 shown]
	v_cndmask_b32_e64 v81, v53, v80, s[0:1]
	v_cmp_nlt_f32_e64 s[0:1], s3, v54
	v_mul_f32_e32 v84, 0x3fb8aa3b, v79
	v_cndmask_b32_e64 v80, v53, v85, s[0:1]
	v_cmp_nlt_f32_e64 s[0:1], s3, v61
	v_fma_f32 v93, v79, s7, -v84
	v_rndne_f32_e32 v94, v84
	v_cndmask_b32_e64 v61, v53, v82, s[0:1]
	v_cmp_nlt_f32_e64 s[0:1], s3, v60
	v_fmac_f32_e32 v93, 0x32a5705f, v79
	v_sub_f32_e32 v84, v84, v94
	v_cndmask_b32_e64 v60, v53, v83, s[0:1]
	v_add_f32_e32 v84, v84, v93
	ds_read_b128 v[70:73], v65 offset:64
	ds_read_b128 v[74:77], v65 offset:80
	v_cvt_i32_f32_e32 v94, v94
	v_exp_f32_e32 v84, v84
	v_cmp_ngt_f32_e64 s[0:1], s2, v79
	s_waitcnt vmcnt(0)
	v_mul_f32_e32 v54, v52, v62
	s_waitcnt lgkmcnt(5)
	v_pk_mul_f32 v[56:57], v[54:55], v[56:57] op_sel_hi:[0,1]
	v_pk_mul_f32 v[58:59], v[54:55], v[58:59] op_sel_hi:[0,1]
	v_pk_fma_f32 v[42:43], v[42:43], v[80:81], v[56:57]
	v_mul_f32_e32 v57, 0x3fb8aa3b, v78
	v_pk_fma_f32 v[44:45], v[44:45], v[60:61], v[58:59]
	v_fma_f32 v58, v78, s7, -v57
	v_rndne_f32_e32 v59, v57
	v_fmac_f32_e32 v58, 0x32a5705f, v78
	v_sub_f32_e32 v57, v57, v59
	v_add_f32_e32 v57, v57, v58
	v_exp_f32_e32 v58, v57
	v_cvt_i32_f32_e32 v59, v59
	s_waitcnt lgkmcnt(1)
	v_fma_f32 v55, v70, v42, 0
	v_ldexp_f32 v56, v84, v94
	v_fmac_f32_e32 v55, v71, v43
	v_cndmask_b32_e64 v56, 0, v56, s[0:1]
	v_cmp_nlt_f32_e64 s[0:1], s3, v79
	v_fmac_f32_e32 v55, v72, v44
	v_cndmask_b32_e64 v57, v53, v56, s[0:1]
	v_ldexp_f32 v56, v58, v59
	v_cmp_ngt_f32_e64 s[0:1], s2, v78
	v_pk_mul_f32 v[60:61], v[52:53], v[12:13] op_sel_hi:[0,1]
	v_fmac_f32_e32 v55, v73, v45
	v_cndmask_b32_e64 v56, 0, v56, s[0:1]
	v_cmp_nlt_f32_e64 s[0:1], s3, v78
	v_mul_f32_e32 v62, 0x3fb8aa3b, v61
	v_cndmask_b32_e64 v56, v53, v56, s[0:1]
	v_pk_mul_f32 v[58:59], v[54:55], v[66:67] op_sel_hi:[0,1]
	v_fma_f32 v66, v61, s7, -v62
	v_rndne_f32_e32 v67, v62
	v_fmac_f32_e32 v66, 0x32a5705f, v61
	v_sub_f32_e32 v62, v62, v67
	v_pk_fma_f32 v[46:47], v[46:47], v[56:57], v[58:59]
	v_mul_f32_e32 v57, 0x3fb8aa3b, v60
	v_add_f32_e32 v62, v62, v66
	v_fma_f32 v58, v60, s7, -v57
	v_rndne_f32_e32 v59, v57
	v_exp_f32_e32 v62, v62
	v_cvt_i32_f32_e32 v66, v67
	v_fmac_f32_e32 v58, 0x32a5705f, v60
	v_sub_f32_e32 v57, v57, v59
	v_add_f32_e32 v57, v57, v58
	v_exp_f32_e32 v58, v57
	v_cvt_i32_f32_e32 v59, v59
	v_ldexp_f32 v56, v62, v66
	v_cmp_ngt_f32_e64 s[0:1], s2, v61
	v_cndmask_b32_e64 v56, 0, v56, s[0:1]
	v_cmp_nlt_f32_e64 s[0:1], s3, v61
	v_cndmask_b32_e64 v57, v53, v56, s[0:1]
	v_ldexp_f32 v56, v58, v59
	v_cmp_ngt_f32_e64 s[0:1], s2, v60
	s_waitcnt lgkmcnt(0)
	v_fmac_f32_e32 v55, v74, v46
	v_cndmask_b32_e64 v56, 0, v56, s[0:1]
	v_cmp_nlt_f32_e64 s[0:1], s3, v60
	v_pk_mul_f32 v[60:61], v[52:53], v[6:7] op_sel_hi:[0,1]
	v_fmac_f32_e32 v55, v75, v47
	v_mul_f32_e32 v62, 0x3fb8aa3b, v61
	v_cndmask_b32_e64 v56, v53, v56, s[0:1]
	v_pk_mul_f32 v[58:59], v[54:55], v[68:69] op_sel_hi:[0,1]
	v_fma_f32 v66, v61, s7, -v62
	v_rndne_f32_e32 v67, v62
	v_fmac_f32_e32 v66, 0x32a5705f, v61
	v_sub_f32_e32 v62, v62, v67
	v_pk_fma_f32 v[48:49], v[48:49], v[56:57], v[58:59]
	v_mul_f32_e32 v57, 0x3fb8aa3b, v60
	v_add_f32_e32 v62, v62, v66
	v_fma_f32 v58, v60, s7, -v57
	v_rndne_f32_e32 v59, v57
	v_exp_f32_e32 v62, v62
	v_cvt_i32_f32_e32 v66, v67
	v_fmac_f32_e32 v58, 0x32a5705f, v60
	v_sub_f32_e32 v57, v57, v59
	v_add_f32_e32 v57, v57, v58
	v_exp_f32_e32 v58, v57
	v_cvt_i32_f32_e32 v59, v59
	v_ldexp_f32 v56, v62, v66
	v_cmp_ngt_f32_e64 s[0:1], s2, v61
	v_cndmask_b32_e64 v56, 0, v56, s[0:1]
	v_cmp_nlt_f32_e64 s[0:1], s3, v61
	v_fmac_f32_e32 v55, v76, v48
	v_cndmask_b32_e64 v57, v53, v56, s[0:1]
	v_ldexp_f32 v56, v58, v59
	v_cmp_ngt_f32_e64 s[0:1], s2, v60
	v_fmac_f32_e32 v55, v77, v49
	v_cndmask_b32_e64 v56, 0, v56, s[0:1]
	v_cmp_nlt_f32_e64 s[0:1], s3, v60
	v_cndmask_b32_e64 v56, v53, v56, s[0:1]
	v_pk_mul_f32 v[22:23], v[54:55], v[22:23] op_sel_hi:[0,1]
	v_pk_fma_f32 v[50:51], v[50:51], v[56:57], v[22:23]
	v_pk_mul_f32 v[22:23], v[52:53], v[8:9] op_sel_hi:[0,1]
	v_mul_f32_e32 v56, 0x3fb8aa3b, v23
	v_rndne_f32_e32 v61, v56
	v_fma_f32 v60, v23, s7, -v56
	v_sub_f32_e32 v62, v56, v61
	ds_read_b128 v[56:59], v65 offset:96
	ds_read_b128 v[66:69], v65 offset:112
	v_fmac_f32_e32 v60, 0x32a5705f, v23
	v_add_f32_e32 v60, v62, v60
	v_exp_f32_e32 v60, v60
	v_cvt_i32_f32_e32 v61, v61
	s_waitcnt lgkmcnt(1)
	v_fmac_f32_e32 v55, v56, v50
	v_fmac_f32_e32 v55, v57, v51
	v_mul_f32_e32 v57, 0x3fb8aa3b, v22
	v_ldexp_f32 v56, v60, v61
	v_fma_f32 v60, v22, s7, -v57
	v_rndne_f32_e32 v61, v57
	v_fmac_f32_e32 v60, 0x32a5705f, v22
	v_sub_f32_e32 v57, v57, v61
	v_add_f32_e32 v57, v57, v60
	v_exp_f32_e32 v57, v57
	v_cvt_i32_f32_e32 v60, v61
	v_cmp_ngt_f32_e64 s[0:1], s2, v23
	v_cndmask_b32_e64 v56, 0, v56, s[0:1]
	v_cmp_nlt_f32_e64 s[0:1], s3, v23
	v_cndmask_b32_e64 v23, v53, v56, s[0:1]
	v_ldexp_f32 v56, v57, v60
	v_cmp_ngt_f32_e64 s[0:1], s2, v22
	v_cndmask_b32_e64 v56, 0, v56, s[0:1]
	v_cmp_nlt_f32_e64 s[0:1], s3, v22
	v_cndmask_b32_e64 v22, v53, v56, s[0:1]
	v_pk_mul_f32 v[56:57], v[52:53], v[2:3] op_sel_hi:[0,1]
	v_mul_f32_e32 v60, 0x3fb8aa3b, v57
	v_pk_mul_f32 v[24:25], v[54:55], v[24:25] op_sel_hi:[0,1]
	v_fma_f32 v61, v57, s7, -v60
	v_rndne_f32_e32 v62, v60
	v_fmac_f32_e32 v61, 0x32a5705f, v57
	v_sub_f32_e32 v60, v60, v62
	v_pk_fma_f32 v[30:31], v[30:31], v[22:23], v[24:25]
	v_mul_f32_e32 v23, 0x3fb8aa3b, v56
	v_add_f32_e32 v60, v60, v61
	v_fma_f32 v24, v56, s7, -v23
	v_rndne_f32_e32 v25, v23
	v_exp_f32_e32 v60, v60
	v_cvt_i32_f32_e32 v61, v62
	v_fmac_f32_e32 v24, 0x32a5705f, v56
	v_sub_f32_e32 v23, v23, v25
	v_add_f32_e32 v23, v23, v24
	v_exp_f32_e32 v24, v23
	v_cvt_i32_f32_e32 v25, v25
	v_ldexp_f32 v22, v60, v61
	v_cmp_ngt_f32_e64 s[0:1], s2, v57
	v_cndmask_b32_e64 v22, 0, v22, s[0:1]
	v_cmp_nlt_f32_e64 s[0:1], s3, v57
	v_fmac_f32_e32 v55, v58, v30
	v_cndmask_b32_e64 v23, v53, v22, s[0:1]
	v_ldexp_f32 v22, v24, v25
	v_cmp_ngt_f32_e64 s[0:1], s2, v56
	v_pk_mul_f32 v[24:25], v[52:53], v[4:5] op_sel_hi:[0,1]
	v_fmac_f32_e32 v55, v59, v31
	v_cndmask_b32_e64 v22, 0, v22, s[0:1]
	v_cmp_nlt_f32_e64 s[0:1], s3, v56
	v_mul_f32_e32 v52, 0x3fb8aa3b, v25
	v_cndmask_b32_e64 v22, v53, v22, s[0:1]
	v_pk_mul_f32 v[18:19], v[54:55], v[18:19] op_sel_hi:[0,1]
	v_fma_f32 v56, v25, s7, -v52
	v_rndne_f32_e32 v57, v52
	v_fmac_f32_e32 v56, 0x32a5705f, v25
	v_sub_f32_e32 v52, v52, v57
	v_pk_fma_f32 v[32:33], v[32:33], v[22:23], v[18:19]
	v_mul_f32_e32 v19, 0x3fb8aa3b, v24
	v_add_f32_e32 v52, v52, v56
	v_fma_f32 v22, v24, s7, -v19
	v_rndne_f32_e32 v23, v19
	v_exp_f32_e32 v52, v52
	v_cvt_i32_f32_e32 v56, v57
	v_fmac_f32_e32 v22, 0x32a5705f, v24
	v_sub_f32_e32 v19, v19, v23
	v_add_f32_e32 v19, v19, v22
	v_exp_f32_e32 v22, v19
	v_cvt_i32_f32_e32 v23, v23
	v_ldexp_f32 v18, v52, v56
	v_cmp_ngt_f32_e64 s[0:1], s2, v25
	v_cndmask_b32_e64 v18, 0, v18, s[0:1]
	v_cmp_nlt_f32_e64 s[0:1], s3, v25
	s_waitcnt lgkmcnt(0)
	v_fmac_f32_e32 v55, v66, v32
	v_cndmask_b32_e64 v19, v53, v18, s[0:1]
	v_ldexp_f32 v18, v22, v23
	v_cmp_ngt_f32_e64 s[0:1], s2, v24
	v_fmac_f32_e32 v55, v67, v33
	v_cndmask_b32_e64 v18, 0, v18, s[0:1]
	v_cmp_nlt_f32_e64 s[0:1], s3, v24
	v_cndmask_b32_e64 v18, v53, v18, s[0:1]
	v_pk_mul_f32 v[20:21], v[54:55], v[20:21] op_sel_hi:[0,1]
	v_pk_fma_f32 v[40:41], v[40:41], v[18:19], v[20:21]
	s_ashr_i64 s[0:1], s[26:27], 28
	v_fmac_f32_e32 v55, v68, v40
	v_mov_b32_e32 v19, s1
	v_add_co_u32_e64 v18, s[0:1], s0, v38
	v_fmac_f32_e32 v55, v69, v41
	v_addc_co_u32_e64 v19, s[0:1], v39, v19, s[0:1]
	global_store_dword v[18:19], v55, off
	s_barrier
	s_and_saveexec_b64 s[0:1], vcc
	s_cbranch_execz .LBB9_22
; %bb.21:
	v_mad_i64_i32 v[18:19], s[2:3], s8, 20, v[0:1]
	global_load_dword v20, v[18:19], off
	v_mad_i64_i32 v[18:19], s[2:3], s10, 20, v[36:37]
	global_load_dword v18, v[18:19], off
	s_waitcnt vmcnt(1)
	ds_write_b32 v63, v20
	s_waitcnt vmcnt(0)
	ds_write_b32 v64, v18
.LBB9_22:
	s_or_b64 exec, exec, s[0:1]
	v_mov_b32_e32 v18, s17
	v_add_co_u32_e64 v26, s[0:1], s16, v26
	v_addc_co_u32_e64 v27, s[0:1], v27, v18, s[0:1]
	s_waitcnt lgkmcnt(0)
	s_barrier
	global_load_dword v56, v[26:27], off
	s_mov_b32 s0, 0x41a00000
	s_waitcnt vmcnt(0)
	v_cmp_ge_f32_e64 s[0:1], s0, v56
	s_and_saveexec_b64 s[14:15], s[0:1]
	s_cbranch_execz .LBB9_24
; %bb.23:
	v_mul_f32_e32 v18, 0x3fb8aa3b, v56
	s_mov_b32 s0, 0x3fb8aa3b
	v_rndne_f32_e32 v19, v18
	v_sub_f32_e32 v20, v18, v19
	v_fma_f32 v18, v56, s0, -v18
	v_fmac_f32_e32 v18, 0x32a5705f, v56
	v_add_f32_e32 v18, v20, v18
	v_exp_f32_e32 v18, v18
	v_cvt_i32_f32_e32 v19, v19
	s_mov_b32 s0, 0xc2ce8ed0
	v_cmp_ngt_f32_e64 s[0:1], s0, v56
	s_mov_b32 s2, 0x7f800000
	v_ldexp_f32 v18, v18, v19
	v_cndmask_b32_e64 v18, 0, v18, s[0:1]
	s_mov_b32 s0, 0x42b17218
	v_mov_b32_e32 v19, 0x7f800000
	v_cmp_nlt_f32_e64 s[0:1], s0, v56
	v_cndmask_b32_e64 v60, v19, v18, s[0:1]
	v_add_f32_e32 v20, 1.0, v60
	v_add_f32_e32 v18, -1.0, v20
	v_sub_f32_e32 v19, v18, v20
	v_add_f32_e32 v19, 1.0, v19
	v_sub_f32_e32 v18, v60, v18
	v_add_f32_e32 v21, v18, v19
	v_frexp_mant_f32_e32 v22, v20
	s_mov_b32 s0, 0x3f2aaaab
	v_cvt_f64_f32_e32 v[18:19], v20
	v_frexp_exp_i32_f64_e32 v18, v[18:19]
	v_cmp_gt_f32_e64 s[0:1], s0, v22
	v_subbrev_co_u32_e64 v52, s[0:1], 0, v18, s[0:1]
	v_sub_u32_e32 v18, 0, v52
	v_ldexp_f32 v19, v20, v18
	v_add_f32_e32 v20, -1.0, v19
	v_add_f32_e32 v22, 1.0, v19
	v_ldexp_f32 v18, v21, v18
	v_add_f32_e32 v21, 1.0, v20
	v_add_f32_e32 v23, -1.0, v22
	v_sub_f32_e32 v21, v19, v21
	v_sub_f32_e32 v19, v19, v23
	v_add_f32_e32 v21, v18, v21
	v_add_f32_e32 v18, v18, v19
	;; [unrolled: 1-line block ×3, first 2 shown]
	v_rcp_f32_e32 v55, v53
	v_sub_f32_e32 v19, v22, v53
	v_add_f32_e32 v54, v18, v19
	v_add_f32_e32 v19, v20, v21
	v_mul_f32_e32 v57, v19, v55
	v_sub_f32_e32 v18, v20, v19
	v_mul_f32_e32 v20, v53, v57
	v_fma_f32 v22, v57, v53, -v20
	v_fmac_f32_e32 v22, v57, v54
	v_add_f32_e32 v56, v21, v18
	v_add_f32_e32 v18, v20, v22
	v_sub_f32_e32 v21, v19, v18
	v_pk_add_f32 v[24:25], v[18:19], v[20:21] neg_lo:[0,1] neg_hi:[0,1]
	v_mov_b32_e32 v23, v18
	v_pk_add_f32 v[18:19], v[24:25], v[22:23] neg_lo:[0,1] neg_hi:[0,1]
	v_add_f32_e32 v19, v56, v19
	v_add_f32_e32 v18, v18, v19
	;; [unrolled: 1-line block ×3, first 2 shown]
	v_mul_f32_e32 v56, v55, v19
	v_mul_f32_e32 v20, v53, v56
	v_fma_f32 v22, v56, v53, -v20
	v_fmac_f32_e32 v22, v56, v54
	v_sub_f32_e32 v21, v21, v19
	v_add_f32_e32 v53, v18, v21
	v_add_f32_e32 v18, v20, v22
	v_sub_f32_e32 v21, v19, v18
	v_pk_add_f32 v[24:25], v[18:19], v[20:21] neg_lo:[0,1] neg_hi:[0,1]
	v_mov_b32_e32 v23, v18
	v_pk_add_f32 v[18:19], v[24:25], v[22:23] neg_lo:[0,1] neg_hi:[0,1]
	v_add_f32_e32 v19, v53, v19
	v_add_f32_e32 v18, v18, v19
	;; [unrolled: 1-line block ×4, first 2 shown]
	v_sub_f32_e32 v19, v21, v57
	v_mul_f32_e32 v18, v55, v18
	v_sub_f32_e32 v19, v56, v19
	v_add_f32_e32 v18, v19, v18
	v_add_f32_e32 v22, v21, v18
	v_mul_f32_e32 v24, v22, v22
	v_mov_b32_e32 v20, 0x3ecc95a3
	v_fmac_f32_e32 v20, 0x3e9b6dac, v24
	v_mov_b32_e32 v19, 0x3f2aaada
	v_fmac_f32_e32 v19, v24, v20
	v_cvt_f32_i32_e32 v20, v52
	v_sub_f32_e32 v21, v22, v21
	v_sub_f32_e32 v18, v18, v21
	v_ldexp_f32 v25, v18, 1
	v_mul_f32_e32 v21, v22, v24
	v_mov_b32_e32 v18, 0x3f317218
	s_mov_b32 s0, 0x3f317218
	v_pk_mul_f32 v[18:19], v[20:21], v[18:19]
	v_ldexp_f32 v23, v22, 1
	v_fma_f32 v22, v20, s0, -v18
	v_fmac_f32_e32 v22, 0xb102e308, v20
	v_pk_add_f32 v[20:21], v[18:19], v[22:23]
	v_sub_f32_e32 v23, v21, v23
	v_sub_f32_e32 v23, v19, v23
	v_add_f32_e32 v25, v25, v23
	v_mov_b32_e32 v24, v18
	v_pk_add_f32 v[18:19], v[20:21], v[18:19] neg_lo:[0,1] neg_hi:[0,1]
	v_pk_add_f32 v[52:53], v[20:21], v[24:25]
	v_mov_b32_e32 v19, v53
	v_mov_b32_e32 v23, v20
	v_pk_add_f32 v[54:55], v[22:23], v[18:19] neg_lo:[0,1] neg_hi:[0,1]
	v_pk_add_f32 v[18:19], v[22:23], v[18:19]
	v_mov_b32_e32 v22, v19
	v_pk_add_f32 v[56:57], v[22:23], v[20:21] neg_lo:[0,1] neg_hi:[0,1]
	v_mov_b32_e32 v23, v56
	v_pk_add_f32 v[58:59], v[52:53], v[22:23] neg_lo:[0,1] neg_hi:[0,1]
	v_mov_b32_e32 v18, v53
	v_mov_b32_e32 v52, v21
	;; [unrolled: 1-line block ×4, first 2 shown]
	v_pk_add_f32 v[18:19], v[18:19], v[52:53] neg_lo:[0,1] neg_hi:[0,1]
	v_mov_b32_e32 v24, v25
	v_mov_b32_e32 v25, v20
	v_pk_add_f32 v[18:19], v[24:25], v[18:19] neg_lo:[0,1] neg_hi:[0,1]
	v_mov_b32_e32 v58, v54
	v_pk_add_f32 v[20:21], v[58:59], v[18:19]
	v_mov_b32_e32 v24, v21
	v_pk_add_f32 v[24:25], v[20:21], v[24:25]
	v_pk_add_f32 v[22:23], v[22:23], v[24:25]
	v_mov_b32_e32 v21, v22
	v_pk_add_f32 v[52:53], v[20:21], v[54:55] neg_lo:[0,1] neg_hi:[0,1]
	v_mov_b32_e32 v19, v24
	v_sub_f32_e32 v20, v20, v52
	v_pk_add_f32 v[18:19], v[18:19], v[52:53] neg_lo:[0,1] neg_hi:[0,1]
	v_sub_f32_e32 v20, v54, v20
	v_add_f32_e32 v18, v18, v20
	v_cmp_eq_f32_e64 s[0:1], s2, v60
	s_mov_b32 s2, 0x33800000
	v_add_f32_e32 v18, v18, v19
	v_cmp_gt_f32_e64 s[2:3], s2, v60
	v_add_f32_e32 v18, v22, v18
	s_or_b64 s[0:1], s[2:3], s[0:1]
	v_cndmask_b32_e64 v56, v18, v60, s[0:1]
.LBB9_24:
	s_or_b64 exec, exec, s[14:15]
	v_mov_b32_e32 v18, s19
	v_add_co_u32_e64 v28, s[0:1], s18, v28
	v_addc_co_u32_e64 v29, s[0:1], v29, v18, s[0:1]
	global_load_dword v57, v[28:29], off
	s_mov_b32 s2, 0xc2ce8ed0
	s_mov_b32 s3, 0x42b17218
	v_mov_b32_e32 v62, 0
	v_mov_b32_e32 v59, 0x7f800000
	ds_read_b128 v[52:55], v62
	ds_read_b128 v[66:69], v62 offset:16
	ds_read_b128 v[22:25], v62 offset:32
	ds_read_b128 v[18:21], v62 offset:48
	ds_read_b128 v[70:73], v62 offset:64
	ds_read_b128 v[74:77], v62 offset:80
	s_waitcnt vmcnt(0)
	v_pk_mul_f32 v[60:61], v[56:57], v[14:15] op_sel_hi:[0,1]
	v_mul_f32_e32 v58, 0x3fb8aa3b, v61
	v_pk_mul_f32 v[78:79], v[56:57], v[16:17] op_sel_hi:[0,1]
	v_mul_f32_e32 v65, 0x3fb8aa3b, v60
	v_fma_f32 v85, v61, s7, -v58
	v_rndne_f32_e32 v89, v58
	v_mul_f32_e32 v82, 0x3fb8aa3b, v79
	v_fma_f32 v86, v60, s7, -v65
	v_rndne_f32_e32 v90, v65
	v_fmac_f32_e32 v85, 0x32a5705f, v61
	v_sub_f32_e32 v58, v58, v89
	v_mul_f32_e32 v83, 0x3fb8aa3b, v78
	v_fma_f32 v87, v79, s7, -v82
	v_rndne_f32_e32 v91, v82
	v_fmac_f32_e32 v86, 0x32a5705f, v60
	v_sub_f32_e32 v65, v65, v90
	v_add_f32_e32 v58, v58, v85
	v_fma_f32 v88, v78, s7, -v83
	v_rndne_f32_e32 v92, v83
	v_fmac_f32_e32 v87, 0x32a5705f, v79
	v_cvt_i32_f32_e32 v89, v89
	v_sub_f32_e32 v82, v82, v91
	v_add_f32_e32 v65, v65, v86
	v_exp_f32_e32 v58, v58
	v_fmac_f32_e32 v88, 0x32a5705f, v78
	v_cvt_i32_f32_e32 v90, v90
	v_sub_f32_e32 v83, v83, v92
	v_add_f32_e32 v82, v82, v87
	v_exp_f32_e32 v65, v65
	v_cvt_i32_f32_e32 v91, v91
	v_add_f32_e32 v83, v83, v88
	v_exp_f32_e32 v82, v82
	v_cvt_i32_f32_e32 v92, v92
	v_exp_f32_e32 v83, v83
	v_ldexp_f32 v58, v58, v89
	v_cmp_ngt_f32_e64 s[0:1], s2, v61
	v_ldexp_f32 v65, v65, v90
	v_cndmask_b32_e64 v58, 0, v58, s[0:1]
	v_cmp_ngt_f32_e64 s[0:1], s2, v60
	v_ldexp_f32 v82, v82, v91
	v_cndmask_b32_e64 v65, 0, v65, s[0:1]
	;; [unrolled: 3-line block ×3, first 2 shown]
	v_cmp_ngt_f32_e64 s[0:1], s2, v78
	v_cndmask_b32_e64 v83, 0, v83, s[0:1]
	v_cmp_nlt_f32_e64 s[0:1], s3, v61
	v_pk_mul_f32 v[80:81], v[56:57], v[10:11] op_sel_hi:[0,1]
	v_cndmask_b32_e64 v61, v59, v58, s[0:1]
	v_cmp_nlt_f32_e64 s[0:1], s3, v60
	v_mul_f32_e32 v84, 0x3fb8aa3b, v81
	v_cndmask_b32_e64 v60, v59, v65, s[0:1]
	v_cmp_nlt_f32_e64 s[0:1], s3, v79
	v_mul_f32_e32 v58, v56, v57
	v_fma_f32 v93, v81, s7, -v84
	v_rndne_f32_e32 v94, v84
	v_cndmask_b32_e64 v79, v59, v82, s[0:1]
	v_cmp_nlt_f32_e64 s[0:1], s3, v78
	s_waitcnt lgkmcnt(5)
	v_pk_mul_f32 v[52:53], v[58:59], v[52:53] op_sel_hi:[0,1]
	v_fmac_f32_e32 v93, 0x32a5705f, v81
	v_sub_f32_e32 v84, v84, v94
	v_cndmask_b32_e64 v78, v59, v83, s[0:1]
	v_pk_mul_f32 v[54:55], v[58:59], v[54:55] op_sel_hi:[0,1]
	v_pk_fma_f32 v[52:53], v[42:43], v[60:61], v[52:53]
	v_mul_f32_e32 v43, 0x3fb8aa3b, v80
	v_add_f32_e32 v84, v84, v93
	v_pk_fma_f32 v[44:45], v[44:45], v[78:79], v[54:55]
	v_fma_f32 v54, v80, s7, -v43
	v_rndne_f32_e32 v55, v43
	v_cvt_i32_f32_e32 v94, v94
	v_exp_f32_e32 v84, v84
	v_fmac_f32_e32 v54, 0x32a5705f, v80
	v_sub_f32_e32 v43, v43, v55
	v_add_f32_e32 v43, v43, v54
	v_exp_f32_e32 v54, v43
	v_cvt_i32_f32_e32 v55, v55
	v_ldexp_f32 v42, v84, v94
	v_cmp_ngt_f32_e64 s[0:1], s2, v81
	v_cndmask_b32_e64 v42, 0, v42, s[0:1]
	v_cmp_nlt_f32_e64 s[0:1], s3, v81
	v_cndmask_b32_e64 v43, v59, v42, s[0:1]
	v_ldexp_f32 v42, v54, v55
	v_cmp_ngt_f32_e64 s[0:1], s2, v80
	v_pk_mul_f32 v[60:61], v[56:57], v[12:13] op_sel_hi:[0,1]
	v_cndmask_b32_e64 v42, 0, v42, s[0:1]
	v_cmp_nlt_f32_e64 s[0:1], s3, v80
	v_mul_f32_e32 v57, 0x3fb8aa3b, v61
	v_cndmask_b32_e64 v42, v59, v42, s[0:1]
	s_waitcnt lgkmcnt(4)
	v_pk_mul_f32 v[54:55], v[58:59], v[66:67] op_sel_hi:[0,1]
	v_fma_f32 v66, v61, s7, -v57
	v_rndne_f32_e32 v67, v57
	v_fmac_f32_e32 v66, 0x32a5705f, v61
	v_sub_f32_e32 v57, v57, v67
	v_pk_fma_f32 v[46:47], v[46:47], v[42:43], v[54:55]
	v_mul_f32_e32 v43, 0x3fb8aa3b, v60
	v_add_f32_e32 v57, v57, v66
	v_fma_f32 v54, v60, s7, -v43
	v_rndne_f32_e32 v55, v43
	v_exp_f32_e32 v57, v57
	v_cvt_i32_f32_e32 v66, v67
	v_fmac_f32_e32 v54, 0x32a5705f, v60
	v_sub_f32_e32 v43, v43, v55
	v_add_f32_e32 v43, v43, v54
	v_exp_f32_e32 v54, v43
	v_cvt_i32_f32_e32 v55, v55
	v_ldexp_f32 v42, v57, v66
	v_cmp_ngt_f32_e64 s[0:1], s2, v61
	v_cndmask_b32_e64 v42, 0, v42, s[0:1]
	v_cmp_nlt_f32_e64 s[0:1], s3, v61
	v_cndmask_b32_e64 v43, v59, v42, s[0:1]
	v_ldexp_f32 v42, v54, v55
	v_cmp_ngt_f32_e64 s[0:1], s2, v60
	v_cndmask_b32_e64 v42, 0, v42, s[0:1]
	v_cmp_nlt_f32_e64 s[0:1], s3, v60
	v_pk_mul_f32 v[60:61], v[56:57], v[6:7] op_sel_hi:[0,1]
	v_mul_f32_e32 v57, 0x3fb8aa3b, v61
	v_cndmask_b32_e64 v42, v59, v42, s[0:1]
	v_pk_mul_f32 v[54:55], v[58:59], v[68:69] op_sel_hi:[0,1]
	v_fma_f32 v66, v61, s7, -v57
	v_rndne_f32_e32 v67, v57
	v_fmac_f32_e32 v66, 0x32a5705f, v61
	v_sub_f32_e32 v57, v57, v67
	v_pk_fma_f32 v[48:49], v[48:49], v[42:43], v[54:55]
	v_mul_f32_e32 v43, 0x3fb8aa3b, v60
	v_add_f32_e32 v57, v57, v66
	v_fma_f32 v54, v60, s7, -v43
	v_rndne_f32_e32 v55, v43
	v_exp_f32_e32 v57, v57
	v_cvt_i32_f32_e32 v66, v67
	v_fmac_f32_e32 v54, 0x32a5705f, v60
	v_sub_f32_e32 v43, v43, v55
	v_add_f32_e32 v43, v43, v54
	v_exp_f32_e32 v54, v43
	v_cvt_i32_f32_e32 v55, v55
	v_ldexp_f32 v42, v57, v66
	v_cmp_ngt_f32_e64 s[0:1], s2, v61
	v_cndmask_b32_e64 v42, 0, v42, s[0:1]
	v_cmp_nlt_f32_e64 s[0:1], s3, v61
	v_cndmask_b32_e64 v43, v59, v42, s[0:1]
	v_ldexp_f32 v42, v54, v55
	v_cmp_ngt_f32_e64 s[0:1], s2, v60
	v_cndmask_b32_e64 v42, 0, v42, s[0:1]
	v_cmp_nlt_f32_e64 s[0:1], s3, v60
	v_cndmask_b32_e64 v42, v59, v42, s[0:1]
	s_waitcnt lgkmcnt(3)
	v_pk_mul_f32 v[22:23], v[58:59], v[22:23] op_sel_hi:[0,1]
	v_pk_fma_f32 v[50:51], v[50:51], v[42:43], v[22:23]
	v_pk_mul_f32 v[22:23], v[56:57], v[8:9] op_sel_hi:[0,1]
	v_mul_f32_e32 v42, 0x3fb8aa3b, v23
	v_fma_f32 v43, v23, s7, -v42
	v_rndne_f32_e32 v54, v42
	v_fmac_f32_e32 v43, 0x32a5705f, v23
	v_sub_f32_e32 v42, v42, v54
	v_add_f32_e32 v42, v42, v43
	v_exp_f32_e32 v42, v42
	v_cvt_i32_f32_e32 v43, v54
	v_cmp_ngt_f32_e64 s[0:1], s2, v23
	v_pk_mul_f32 v[24:25], v[58:59], v[24:25] op_sel_hi:[0,1]
	s_waitcnt lgkmcnt(1)
	v_fma_f32 v65, v70, v52, 0
	v_ldexp_f32 v42, v42, v43
	v_mul_f32_e32 v43, 0x3fb8aa3b, v22
	v_fma_f32 v54, v22, s7, -v43
	v_rndne_f32_e32 v55, v43
	v_fmac_f32_e32 v54, 0x32a5705f, v22
	v_sub_f32_e32 v43, v43, v55
	v_add_f32_e32 v43, v43, v54
	v_exp_f32_e32 v43, v43
	v_cvt_i32_f32_e32 v54, v55
	v_cndmask_b32_e64 v42, 0, v42, s[0:1]
	v_cmp_nlt_f32_e64 s[0:1], s3, v23
	v_cndmask_b32_e64 v23, v59, v42, s[0:1]
	v_ldexp_f32 v42, v43, v54
	v_cmp_ngt_f32_e64 s[0:1], s2, v22
	v_cndmask_b32_e64 v42, 0, v42, s[0:1]
	v_cmp_nlt_f32_e64 s[0:1], s3, v22
	v_cndmask_b32_e64 v22, v59, v42, s[0:1]
	v_pk_mul_f32 v[42:43], v[56:57], v[2:3] op_sel_hi:[0,1]
	v_mul_f32_e32 v54, 0x3fb8aa3b, v43
	v_fma_f32 v55, v43, s7, -v54
	v_rndne_f32_e32 v57, v54
	v_fmac_f32_e32 v55, 0x32a5705f, v43
	v_sub_f32_e32 v54, v54, v57
	v_add_f32_e32 v54, v54, v55
	v_exp_f32_e32 v60, v54
	v_pk_fma_f32 v[54:55], v[30:31], v[22:23], v[24:25]
	v_mul_f32_e32 v23, 0x3fb8aa3b, v42
	v_fma_f32 v24, v42, s7, -v23
	v_rndne_f32_e32 v25, v23
	v_cvt_i32_f32_e32 v57, v57
	v_fmac_f32_e32 v24, 0x32a5705f, v42
	v_sub_f32_e32 v23, v23, v25
	v_add_f32_e32 v23, v23, v24
	v_exp_f32_e32 v24, v23
	v_cvt_i32_f32_e32 v25, v25
	v_ldexp_f32 v22, v60, v57
	v_cmp_ngt_f32_e64 s[0:1], s2, v43
	v_cndmask_b32_e64 v22, 0, v22, s[0:1]
	v_cmp_nlt_f32_e64 s[0:1], s3, v43
	v_cndmask_b32_e64 v23, v59, v22, s[0:1]
	v_ldexp_f32 v22, v24, v25
	v_cmp_ngt_f32_e64 s[0:1], s2, v42
	v_pk_mul_f32 v[24:25], v[56:57], v[4:5] op_sel_hi:[0,1]
	v_cndmask_b32_e64 v22, 0, v22, s[0:1]
	v_cmp_nlt_f32_e64 s[0:1], s3, v42
	v_mul_f32_e32 v30, 0x3fb8aa3b, v25
	v_fmac_f32_e32 v65, v71, v53
	v_cndmask_b32_e64 v22, v59, v22, s[0:1]
	v_pk_mul_f32 v[18:19], v[58:59], v[18:19] op_sel_hi:[0,1]
	v_fma_f32 v31, v25, s7, -v30
	v_rndne_f32_e32 v42, v30
	v_fmac_f32_e32 v65, v72, v44
	v_fmac_f32_e32 v31, 0x32a5705f, v25
	v_sub_f32_e32 v30, v30, v42
	v_pk_fma_f32 v[56:57], v[32:33], v[22:23], v[18:19]
	v_mul_f32_e32 v19, 0x3fb8aa3b, v24
	v_fmac_f32_e32 v65, v73, v45
	ds_read_b128 v[66:69], v62 offset:96
	ds_read_b128 v[70:73], v62 offset:112
	v_add_f32_e32 v30, v30, v31
	v_fma_f32 v22, v24, s7, -v19
	v_rndne_f32_e32 v23, v19
	s_waitcnt lgkmcnt(2)
	v_fmac_f32_e32 v65, v74, v46
	v_exp_f32_e32 v30, v30
	v_cvt_i32_f32_e32 v31, v42
	v_fmac_f32_e32 v22, 0x32a5705f, v24
	v_sub_f32_e32 v19, v19, v23
	v_fmac_f32_e32 v65, v75, v47
	v_add_f32_e32 v19, v19, v22
	v_fmac_f32_e32 v65, v76, v48
	v_exp_f32_e32 v22, v19
	v_cvt_i32_f32_e32 v23, v23
	v_fmac_f32_e32 v65, v77, v49
	s_waitcnt lgkmcnt(1)
	v_fmac_f32_e32 v65, v66, v50
	v_ldexp_f32 v18, v30, v31
	v_cmp_ngt_f32_e64 s[0:1], s2, v25
	v_fmac_f32_e32 v65, v67, v51
	v_cndmask_b32_e64 v18, 0, v18, s[0:1]
	v_cmp_nlt_f32_e64 s[0:1], s3, v25
	v_fmac_f32_e32 v65, v68, v54
	v_cndmask_b32_e64 v19, v59, v18, s[0:1]
	v_ldexp_f32 v18, v22, v23
	v_cmp_ngt_f32_e64 s[0:1], s2, v24
	v_fmac_f32_e32 v65, v69, v55
	v_cndmask_b32_e64 v18, 0, v18, s[0:1]
	v_cmp_nlt_f32_e64 s[0:1], s3, v24
	s_waitcnt lgkmcnt(0)
	v_fmac_f32_e32 v65, v70, v56
	v_cndmask_b32_e64 v18, v59, v18, s[0:1]
	v_pk_mul_f32 v[20:21], v[58:59], v[20:21] op_sel_hi:[0,1]
	v_fmac_f32_e32 v65, v71, v57
	v_pk_fma_f32 v[58:59], v[40:41], v[18:19], v[20:21]
	v_fmac_f32_e32 v65, v72, v58
	v_fmac_f32_e32 v65, v73, v59
	v_mad_i64_i32 v[42:43], s[0:1], s20, 20, v[38:39]
	global_store_dword v[42:43], v65, off
	s_barrier
	s_and_saveexec_b64 s[0:1], vcc
	s_cbranch_execz .LBB9_26
; %bb.25:
	v_mad_i64_i32 v[18:19], s[2:3], s8, 24, v[0:1]
	global_load_dword v20, v[18:19], off
	v_mad_i64_i32 v[18:19], s[2:3], s10, 24, v[36:37]
	global_load_dword v18, v[18:19], off
	s_waitcnt vmcnt(1)
	ds_write_b32 v63, v20
	s_waitcnt vmcnt(0)
	ds_write_b32 v64, v18
.LBB9_26:
	s_or_b64 exec, exec, s[0:1]
	v_mov_b32_e32 v18, s17
	v_add_co_u32_e64 v40, s[0:1], s16, v26
	v_addc_co_u32_e64 v41, s[0:1], v27, v18, s[0:1]
	s_waitcnt lgkmcnt(0)
	s_barrier
	global_load_dword v60, v[40:41], off
	s_mov_b32 s0, 0x41a00000
	s_waitcnt vmcnt(0)
	v_cmp_ge_f32_e64 s[0:1], s0, v60
	s_and_saveexec_b64 s[14:15], s[0:1]
	s_cbranch_execz .LBB9_28
; %bb.27:
	v_mul_f32_e32 v18, 0x3fb8aa3b, v60
	s_mov_b32 s0, 0x3fb8aa3b
	v_rndne_f32_e32 v19, v18
	v_sub_f32_e32 v20, v18, v19
	v_fma_f32 v18, v60, s0, -v18
	v_fmac_f32_e32 v18, 0x32a5705f, v60
	v_add_f32_e32 v18, v20, v18
	v_exp_f32_e32 v18, v18
	v_cvt_i32_f32_e32 v19, v19
	s_mov_b32 s0, 0xc2ce8ed0
	v_cmp_ngt_f32_e64 s[0:1], s0, v60
	s_mov_b32 s2, 0x7f800000
	v_ldexp_f32 v18, v18, v19
	v_cndmask_b32_e64 v18, 0, v18, s[0:1]
	s_mov_b32 s0, 0x42b17218
	v_mov_b32_e32 v19, 0x7f800000
	v_cmp_nlt_f32_e64 s[0:1], s0, v60
	v_cndmask_b32_e64 v60, v19, v18, s[0:1]
	v_add_f32_e32 v20, 1.0, v60
	v_add_f32_e32 v18, -1.0, v20
	v_sub_f32_e32 v19, v18, v20
	v_add_f32_e32 v19, 1.0, v19
	v_sub_f32_e32 v18, v60, v18
	v_add_f32_e32 v21, v18, v19
	v_frexp_mant_f32_e32 v22, v20
	s_mov_b32 s0, 0x3f2aaaab
	v_cvt_f64_f32_e32 v[18:19], v20
	v_frexp_exp_i32_f64_e32 v18, v[18:19]
	v_cmp_gt_f32_e64 s[0:1], s0, v22
	v_subbrev_co_u32_e64 v26, s[0:1], 0, v18, s[0:1]
	v_sub_u32_e32 v18, 0, v26
	v_ldexp_f32 v19, v20, v18
	v_add_f32_e32 v20, -1.0, v19
	v_add_f32_e32 v22, 1.0, v19
	v_ldexp_f32 v18, v21, v18
	v_add_f32_e32 v21, 1.0, v20
	v_add_f32_e32 v23, -1.0, v22
	v_sub_f32_e32 v21, v19, v21
	v_sub_f32_e32 v19, v19, v23
	v_add_f32_e32 v21, v18, v21
	v_add_f32_e32 v18, v18, v19
	;; [unrolled: 1-line block ×3, first 2 shown]
	v_rcp_f32_e32 v31, v27
	v_sub_f32_e32 v19, v22, v27
	v_add_f32_e32 v30, v18, v19
	v_add_f32_e32 v19, v20, v21
	v_mul_f32_e32 v33, v19, v31
	v_sub_f32_e32 v18, v20, v19
	v_mul_f32_e32 v20, v27, v33
	v_fma_f32 v22, v33, v27, -v20
	v_fmac_f32_e32 v22, v33, v30
	v_add_f32_e32 v32, v21, v18
	v_add_f32_e32 v18, v20, v22
	v_sub_f32_e32 v21, v19, v18
	v_pk_add_f32 v[24:25], v[18:19], v[20:21] neg_lo:[0,1] neg_hi:[0,1]
	v_mov_b32_e32 v23, v18
	v_pk_add_f32 v[18:19], v[24:25], v[22:23] neg_lo:[0,1] neg_hi:[0,1]
	v_add_f32_e32 v19, v32, v19
	v_add_f32_e32 v18, v18, v19
	;; [unrolled: 1-line block ×3, first 2 shown]
	v_mul_f32_e32 v32, v31, v19
	v_mul_f32_e32 v20, v27, v32
	v_fma_f32 v22, v32, v27, -v20
	v_fmac_f32_e32 v22, v32, v30
	v_sub_f32_e32 v21, v21, v19
	v_add_f32_e32 v27, v18, v21
	v_add_f32_e32 v18, v20, v22
	v_sub_f32_e32 v21, v19, v18
	v_pk_add_f32 v[24:25], v[18:19], v[20:21] neg_lo:[0,1] neg_hi:[0,1]
	v_mov_b32_e32 v23, v18
	v_pk_add_f32 v[18:19], v[24:25], v[22:23] neg_lo:[0,1] neg_hi:[0,1]
	v_add_f32_e32 v19, v27, v19
	v_add_f32_e32 v18, v18, v19
	;; [unrolled: 1-line block ×4, first 2 shown]
	v_sub_f32_e32 v19, v21, v33
	v_mul_f32_e32 v18, v31, v18
	v_sub_f32_e32 v19, v32, v19
	v_add_f32_e32 v18, v19, v18
	v_add_f32_e32 v22, v21, v18
	v_mul_f32_e32 v24, v22, v22
	v_mov_b32_e32 v20, 0x3ecc95a3
	v_fmac_f32_e32 v20, 0x3e9b6dac, v24
	v_mov_b32_e32 v19, 0x3f2aaada
	v_fmac_f32_e32 v19, v24, v20
	v_cvt_f32_i32_e32 v20, v26
	v_sub_f32_e32 v21, v22, v21
	v_sub_f32_e32 v18, v18, v21
	v_ldexp_f32 v25, v18, 1
	v_mul_f32_e32 v21, v22, v24
	v_mov_b32_e32 v18, 0x3f317218
	s_mov_b32 s0, 0x3f317218
	v_pk_mul_f32 v[18:19], v[20:21], v[18:19]
	v_ldexp_f32 v23, v22, 1
	v_fma_f32 v22, v20, s0, -v18
	v_fmac_f32_e32 v22, 0xb102e308, v20
	v_pk_add_f32 v[20:21], v[18:19], v[22:23]
	v_sub_f32_e32 v23, v21, v23
	v_sub_f32_e32 v23, v19, v23
	v_add_f32_e32 v25, v25, v23
	v_mov_b32_e32 v24, v18
	v_pk_add_f32 v[18:19], v[20:21], v[18:19] neg_lo:[0,1] neg_hi:[0,1]
	v_pk_add_f32 v[26:27], v[20:21], v[24:25]
	v_mov_b32_e32 v19, v27
	v_mov_b32_e32 v23, v20
	v_pk_add_f32 v[30:31], v[22:23], v[18:19] neg_lo:[0,1] neg_hi:[0,1]
	v_pk_add_f32 v[18:19], v[22:23], v[18:19]
	v_mov_b32_e32 v22, v19
	v_pk_add_f32 v[32:33], v[22:23], v[20:21] neg_lo:[0,1] neg_hi:[0,1]
	v_mov_b32_e32 v23, v32
	v_pk_add_f32 v[38:39], v[26:27], v[22:23] neg_lo:[0,1] neg_hi:[0,1]
	v_mov_b32_e32 v18, v27
	v_mov_b32_e32 v26, v21
	;; [unrolled: 1-line block ×4, first 2 shown]
	v_pk_add_f32 v[18:19], v[18:19], v[26:27] neg_lo:[0,1] neg_hi:[0,1]
	v_mov_b32_e32 v24, v25
	v_mov_b32_e32 v25, v20
	v_pk_add_f32 v[18:19], v[24:25], v[18:19] neg_lo:[0,1] neg_hi:[0,1]
	v_mov_b32_e32 v38, v30
	v_pk_add_f32 v[20:21], v[38:39], v[18:19]
	v_mov_b32_e32 v24, v21
	v_pk_add_f32 v[24:25], v[20:21], v[24:25]
	v_pk_add_f32 v[22:23], v[22:23], v[24:25]
	v_mov_b32_e32 v21, v22
	v_pk_add_f32 v[26:27], v[20:21], v[30:31] neg_lo:[0,1] neg_hi:[0,1]
	v_mov_b32_e32 v19, v24
	v_sub_f32_e32 v20, v20, v26
	v_pk_add_f32 v[18:19], v[18:19], v[26:27] neg_lo:[0,1] neg_hi:[0,1]
	v_sub_f32_e32 v20, v30, v20
	v_add_f32_e32 v18, v18, v20
	v_cmp_eq_f32_e64 s[0:1], s2, v60
	s_mov_b32 s2, 0x33800000
	v_add_f32_e32 v18, v18, v19
	v_cmp_gt_f32_e64 s[2:3], s2, v60
	v_add_f32_e32 v18, v22, v18
	s_or_b64 s[0:1], s[2:3], s[0:1]
	v_cndmask_b32_e64 v60, v18, v60, s[0:1]
.LBB9_28:
	s_or_b64 exec, exec, s[14:15]
	v_mov_b32_e32 v18, s19
	v_add_co_u32_e64 v32, s[0:1], s18, v28
	v_addc_co_u32_e64 v33, s[0:1], v29, v18, s[0:1]
	global_load_dword v62, v[32:33], off
	v_pk_mul_f32 v[30:31], v[60:61], v[14:15] op_sel_hi:[0,1]
	v_mov_b32_e32 v61, 0x7f800000
	v_mul_f32_e32 v80, 0x3fb8aa3b, v31
	v_pk_mul_f32 v[38:39], v[60:61], v[16:17] op_sel_hi:[0,1]
	v_mul_f32_e32 v81, 0x3fb8aa3b, v30
	v_fma_f32 v85, v31, s7, -v80
	v_rndne_f32_e32 v89, v80
	v_mul_f32_e32 v82, 0x3fb8aa3b, v39
	v_fma_f32 v86, v30, s7, -v81
	v_rndne_f32_e32 v90, v81
	v_fmac_f32_e32 v85, 0x32a5705f, v31
	v_sub_f32_e32 v80, v80, v89
	v_mul_f32_e32 v83, 0x3fb8aa3b, v38
	v_fma_f32 v87, v39, s7, -v82
	v_rndne_f32_e32 v91, v82
	v_fmac_f32_e32 v86, 0x32a5705f, v30
	v_sub_f32_e32 v81, v81, v90
	v_add_f32_e32 v80, v80, v85
	v_fma_f32 v88, v38, s7, -v83
	v_rndne_f32_e32 v92, v83
	v_fmac_f32_e32 v87, 0x32a5705f, v39
	v_cvt_i32_f32_e32 v89, v89
	v_sub_f32_e32 v82, v82, v91
	v_add_f32_e32 v81, v81, v86
	v_exp_f32_e32 v80, v80
	v_fmac_f32_e32 v88, 0x32a5705f, v38
	v_cvt_i32_f32_e32 v90, v90
	v_sub_f32_e32 v83, v83, v92
	v_add_f32_e32 v82, v82, v87
	v_exp_f32_e32 v81, v81
	v_cvt_i32_f32_e32 v91, v91
	v_add_f32_e32 v83, v83, v88
	v_exp_f32_e32 v82, v82
	s_mov_b32 s2, 0xc2ce8ed0
	v_cvt_i32_f32_e32 v92, v92
	v_exp_f32_e32 v83, v83
	v_ldexp_f32 v80, v80, v89
	v_cmp_ngt_f32_e64 s[0:1], s2, v31
	v_ldexp_f32 v81, v81, v90
	v_cndmask_b32_e64 v80, 0, v80, s[0:1]
	v_cmp_ngt_f32_e64 s[0:1], s2, v30
	v_ldexp_f32 v82, v82, v91
	v_cndmask_b32_e64 v81, 0, v81, s[0:1]
	v_cmp_ngt_f32_e64 s[0:1], s2, v39
	s_mov_b32 s3, 0x42b17218
	v_ldexp_f32 v83, v83, v92
	v_cndmask_b32_e64 v82, 0, v82, s[0:1]
	v_cmp_ngt_f32_e64 s[0:1], s2, v38
	v_mov_b32_e32 v65, 0
	v_cndmask_b32_e64 v83, 0, v83, s[0:1]
	v_cmp_nlt_f32_e64 s[0:1], s3, v31
	v_pk_mul_f32 v[78:79], v[60:61], v[10:11] op_sel_hi:[0,1]
	ds_read_b128 v[26:29], v65
	ds_read_b128 v[66:69], v65 offset:16
	ds_read_b128 v[22:25], v65 offset:32
	;; [unrolled: 1-line block ×3, first 2 shown]
	v_cndmask_b32_e64 v31, v61, v80, s[0:1]
	v_cmp_nlt_f32_e64 s[0:1], s3, v30
	v_mul_f32_e32 v84, 0x3fb8aa3b, v79
	v_cndmask_b32_e64 v30, v61, v81, s[0:1]
	v_cmp_nlt_f32_e64 s[0:1], s3, v39
	v_fma_f32 v93, v79, s7, -v84
	v_rndne_f32_e32 v94, v84
	v_cndmask_b32_e64 v39, v61, v82, s[0:1]
	v_cmp_nlt_f32_e64 s[0:1], s3, v38
	v_fmac_f32_e32 v93, 0x32a5705f, v79
	v_sub_f32_e32 v84, v84, v94
	v_cndmask_b32_e64 v38, v61, v83, s[0:1]
	v_add_f32_e32 v84, v84, v93
	v_cvt_i32_f32_e32 v94, v94
	v_exp_f32_e32 v84, v84
	v_cmp_ngt_f32_e64 s[0:1], s2, v79
	ds_read_b128 v[70:73], v65 offset:64
	ds_read_b128 v[74:77], v65 offset:80
	s_waitcnt vmcnt(0)
	v_mul_f32_e32 v62, v60, v62
	s_waitcnt lgkmcnt(5)
	v_pk_mul_f32 v[26:27], v[62:63], v[26:27] op_sel_hi:[0,1]
	v_pk_mul_f32 v[28:29], v[62:63], v[28:29] op_sel_hi:[0,1]
	v_pk_fma_f32 v[52:53], v[52:53], v[30:31], v[26:27]
	v_mul_f32_e32 v27, 0x3fb8aa3b, v78
	v_pk_fma_f32 v[30:31], v[44:45], v[38:39], v[28:29]
	v_fma_f32 v28, v78, s7, -v27
	v_rndne_f32_e32 v29, v27
	v_fmac_f32_e32 v28, 0x32a5705f, v78
	v_sub_f32_e32 v27, v27, v29
	v_add_f32_e32 v27, v27, v28
	v_exp_f32_e32 v28, v27
	v_cvt_i32_f32_e32 v29, v29
	v_ldexp_f32 v26, v84, v94
	v_pk_mul_f32 v[38:39], v[60:61], v[12:13] op_sel_hi:[0,1]
	v_cndmask_b32_e64 v26, 0, v26, s[0:1]
	v_cmp_nlt_f32_e64 s[0:1], s3, v79
	v_mul_f32_e32 v44, 0x3fb8aa3b, v39
	v_cndmask_b32_e64 v27, v61, v26, s[0:1]
	v_ldexp_f32 v26, v28, v29
	s_waitcnt lgkmcnt(4)
	v_pk_mul_f32 v[28:29], v[62:63], v[66:67] op_sel_hi:[0,1]
	v_fma_f32 v45, v39, s7, -v44
	v_rndne_f32_e32 v66, v44
	v_fmac_f32_e32 v45, 0x32a5705f, v39
	v_sub_f32_e32 v44, v44, v66
	v_add_f32_e32 v44, v44, v45
	v_cmp_ngt_f32_e64 s[0:1], s2, v78
	v_exp_f32_e32 v44, v44
	v_cvt_i32_f32_e32 v45, v66
	v_cndmask_b32_e64 v26, 0, v26, s[0:1]
	v_cmp_nlt_f32_e64 s[0:1], s3, v78
	v_cndmask_b32_e64 v26, v61, v26, s[0:1]
	v_pk_fma_f32 v[26:27], v[46:47], v[26:27], v[28:29]
	v_mul_f32_e32 v29, 0x3fb8aa3b, v38
	v_ldexp_f32 v28, v44, v45
	v_fma_f32 v44, v38, s7, -v29
	v_rndne_f32_e32 v45, v29
	v_fmac_f32_e32 v44, 0x32a5705f, v38
	v_sub_f32_e32 v29, v29, v45
	v_add_f32_e32 v29, v29, v44
	v_exp_f32_e32 v44, v29
	v_cvt_i32_f32_e32 v45, v45
	v_cmp_ngt_f32_e64 s[0:1], s2, v39
	v_cndmask_b32_e64 v28, 0, v28, s[0:1]
	v_cmp_nlt_f32_e64 s[0:1], s3, v39
	v_cndmask_b32_e64 v29, v61, v28, s[0:1]
	v_ldexp_f32 v28, v44, v45
	v_pk_mul_f32 v[44:45], v[60:61], v[6:7] op_sel_hi:[0,1]
	v_mul_f32_e32 v46, 0x3fb8aa3b, v45
	v_fma_f32 v47, v45, s7, -v46
	v_rndne_f32_e32 v66, v46
	v_fmac_f32_e32 v47, 0x32a5705f, v45
	v_sub_f32_e32 v46, v46, v66
	v_add_f32_e32 v46, v46, v47
	v_cmp_ngt_f32_e64 s[0:1], s2, v38
	v_exp_f32_e32 v46, v46
	v_cvt_i32_f32_e32 v47, v66
	v_cndmask_b32_e64 v28, 0, v28, s[0:1]
	v_cmp_nlt_f32_e64 s[0:1], s3, v38
	v_cndmask_b32_e64 v28, v61, v28, s[0:1]
	v_pk_mul_f32 v[38:39], v[62:63], v[68:69] op_sel_hi:[0,1]
	v_pk_fma_f32 v[28:29], v[48:49], v[28:29], v[38:39]
	v_mul_f32_e32 v39, 0x3fb8aa3b, v44
	v_ldexp_f32 v38, v46, v47
	v_fma_f32 v46, v44, s7, -v39
	v_rndne_f32_e32 v47, v39
	v_fmac_f32_e32 v46, 0x32a5705f, v44
	v_sub_f32_e32 v39, v39, v47
	v_add_f32_e32 v39, v39, v46
	v_exp_f32_e32 v46, v39
	v_cvt_i32_f32_e32 v47, v47
	v_cmp_ngt_f32_e64 s[0:1], s2, v45
	v_cndmask_b32_e64 v38, 0, v38, s[0:1]
	v_cmp_nlt_f32_e64 s[0:1], s3, v45
	v_cndmask_b32_e64 v39, v61, v38, s[0:1]
	v_ldexp_f32 v38, v46, v47
	v_cmp_ngt_f32_e64 s[0:1], s2, v44
	v_cndmask_b32_e64 v38, 0, v38, s[0:1]
	v_cmp_nlt_f32_e64 s[0:1], s3, v44
	v_cndmask_b32_e64 v38, v61, v38, s[0:1]
	s_waitcnt lgkmcnt(3)
	v_pk_mul_f32 v[22:23], v[62:63], v[22:23] op_sel_hi:[0,1]
	s_waitcnt lgkmcnt(1)
	v_fma_f32 v70, v70, v52, 0
	v_pk_fma_f32 v[22:23], v[50:51], v[38:39], v[22:23]
	v_pk_mul_f32 v[38:39], v[60:61], v[8:9] op_sel_hi:[0,1]
	v_fmac_f32_e32 v70, v71, v53
	v_mul_f32_e32 v44, 0x3fb8aa3b, v39
	v_fmac_f32_e32 v70, v72, v30
	v_rndne_f32_e32 v49, v44
	v_fmac_f32_e32 v70, v73, v31
	v_fma_f32 v48, v39, s7, -v44
	v_sub_f32_e32 v50, v44, v49
	ds_read_b128 v[44:47], v65 offset:96
	s_waitcnt lgkmcnt(1)
	v_fmac_f32_e32 v70, v74, v26
	v_fmac_f32_e32 v48, 0x32a5705f, v39
	;; [unrolled: 1-line block ×3, first 2 shown]
	v_add_f32_e32 v48, v50, v48
	v_fmac_f32_e32 v70, v76, v28
	v_exp_f32_e32 v66, v48
	v_cvt_i32_f32_e32 v67, v49
	ds_read_b128 v[48:51], v65 offset:112
	v_fmac_f32_e32 v70, v77, v29
	s_waitcnt lgkmcnt(1)
	v_fmac_f32_e32 v70, v44, v22
	v_fmac_f32_e32 v70, v45, v23
	v_mul_f32_e32 v45, 0x3fb8aa3b, v38
	v_ldexp_f32 v44, v66, v67
	v_fma_f32 v65, v38, s7, -v45
	v_rndne_f32_e32 v66, v45
	v_fmac_f32_e32 v65, 0x32a5705f, v38
	v_sub_f32_e32 v45, v45, v66
	v_add_f32_e32 v45, v45, v65
	v_exp_f32_e32 v45, v45
	v_cvt_i32_f32_e32 v65, v66
	v_cmp_ngt_f32_e64 s[0:1], s2, v39
	v_cndmask_b32_e64 v44, 0, v44, s[0:1]
	v_cmp_nlt_f32_e64 s[0:1], s3, v39
	v_cndmask_b32_e64 v39, v61, v44, s[0:1]
	v_ldexp_f32 v44, v45, v65
	v_cmp_ngt_f32_e64 s[0:1], s2, v38
	v_cndmask_b32_e64 v44, 0, v44, s[0:1]
	v_cmp_nlt_f32_e64 s[0:1], s3, v38
	v_cndmask_b32_e64 v38, v61, v44, s[0:1]
	v_pk_mul_f32 v[44:45], v[60:61], v[2:3] op_sel_hi:[0,1]
	v_pk_mul_f32 v[24:25], v[62:63], v[24:25] op_sel_hi:[0,1]
	v_mul_f32_e32 v65, 0x3fb8aa3b, v45
	v_fma_f32 v66, v45, s7, -v65
	v_rndne_f32_e32 v67, v65
	v_pk_fma_f32 v[38:39], v[54:55], v[38:39], v[24:25]
	v_fmac_f32_e32 v66, 0x32a5705f, v45
	v_sub_f32_e32 v65, v65, v67
	v_fmac_f32_e32 v70, v46, v38
	v_mul_f32_e32 v25, 0x3fb8aa3b, v44
	v_add_f32_e32 v65, v65, v66
	v_fmac_f32_e32 v70, v47, v39
	v_fma_f32 v46, v44, s7, -v25
	v_rndne_f32_e32 v47, v25
	v_exp_f32_e32 v65, v65
	v_cvt_i32_f32_e32 v66, v67
	v_fmac_f32_e32 v46, 0x32a5705f, v44
	v_sub_f32_e32 v25, v25, v47
	v_add_f32_e32 v25, v25, v46
	v_exp_f32_e32 v46, v25
	v_cvt_i32_f32_e32 v47, v47
	v_ldexp_f32 v24, v65, v66
	v_cmp_ngt_f32_e64 s[0:1], s2, v45
	v_cndmask_b32_e64 v24, 0, v24, s[0:1]
	v_cmp_nlt_f32_e64 s[0:1], s3, v45
	v_cndmask_b32_e64 v25, v61, v24, s[0:1]
	v_ldexp_f32 v24, v46, v47
	v_cmp_ngt_f32_e64 s[0:1], s2, v44
	v_cndmask_b32_e64 v24, 0, v24, s[0:1]
	v_cmp_nlt_f32_e64 s[0:1], s3, v44
	v_pk_mul_f32 v[44:45], v[60:61], v[4:5] op_sel_hi:[0,1]
	v_mul_f32_e32 v46, 0x3fb8aa3b, v45
	v_fma_f32 v47, v45, s7, -v46
	v_rndne_f32_e32 v54, v46
	v_fmac_f32_e32 v47, 0x32a5705f, v45
	v_sub_f32_e32 v46, v46, v54
	v_add_f32_e32 v46, v46, v47
	v_exp_f32_e32 v46, v46
	v_cvt_i32_f32_e32 v47, v54
	v_cndmask_b32_e64 v24, v61, v24, s[0:1]
	v_pk_mul_f32 v[18:19], v[62:63], v[18:19] op_sel_hi:[0,1]
	v_pk_fma_f32 v[24:25], v[56:57], v[24:25], v[18:19]
	v_mul_f32_e32 v19, 0x3fb8aa3b, v44
	v_ldexp_f32 v18, v46, v47
	v_fma_f32 v46, v44, s7, -v19
	v_rndne_f32_e32 v47, v19
	v_fmac_f32_e32 v46, 0x32a5705f, v44
	v_sub_f32_e32 v19, v19, v47
	v_add_f32_e32 v19, v19, v46
	v_exp_f32_e32 v46, v19
	v_cvt_i32_f32_e32 v47, v47
	v_cmp_ngt_f32_e64 s[0:1], s2, v45
	v_cndmask_b32_e64 v18, 0, v18, s[0:1]
	v_cmp_nlt_f32_e64 s[0:1], s3, v45
	v_cndmask_b32_e64 v19, v61, v18, s[0:1]
	v_ldexp_f32 v18, v46, v47
	v_cmp_ngt_f32_e64 s[0:1], s2, v44
	v_cndmask_b32_e64 v18, 0, v18, s[0:1]
	v_cmp_nlt_f32_e64 s[0:1], s3, v44
	s_waitcnt lgkmcnt(0)
	v_fmac_f32_e32 v70, v48, v24
	v_cndmask_b32_e64 v18, v61, v18, s[0:1]
	v_pk_mul_f32 v[20:21], v[62:63], v[20:21] op_sel_hi:[0,1]
	v_fmac_f32_e32 v70, v49, v25
	v_pk_fma_f32 v[20:21], v[58:59], v[18:19], v[20:21]
	v_fmac_f32_e32 v70, v50, v20
	v_mov_b32_e32 v19, s5
	v_add_co_u32_e64 v18, s[0:1], s4, v42
	v_fmac_f32_e32 v70, v51, v21
	v_addc_co_u32_e64 v19, s[0:1], v43, v19, s[0:1]
	global_store_dword v[18:19], v70, off
	s_barrier
	s_and_saveexec_b64 s[0:1], vcc
	s_cbranch_execz .LBB9_30
; %bb.29:
	v_mad_i64_i32 v[0:1], s[2:3], s8, 28, v[0:1]
	global_load_dword v42, v[0:1], off
	v_mad_i64_i32 v[0:1], s[2:3], s10, 28, v[36:37]
	global_load_dword v0, v[0:1], off
	s_waitcnt vmcnt(1)
	ds_write_b32 v63, v42
	s_waitcnt vmcnt(0)
	ds_write_b32 v64, v0
.LBB9_30:
	s_or_b64 exec, exec, s[0:1]
	v_mov_b32_e32 v1, s17
	v_add_co_u32_e32 v0, vcc, s16, v40
	v_addc_co_u32_e32 v1, vcc, v41, v1, vcc
	s_waitcnt lgkmcnt(0)
	s_barrier
	global_load_dword v48, v[0:1], off
	s_mov_b32 s0, 0x41a00000
	s_waitcnt vmcnt(0)
	v_cmp_ge_f32_e32 vcc, s0, v48
	s_and_saveexec_b64 s[2:3], vcc
	s_cbranch_execz .LBB9_32
; %bb.31:
	v_mul_f32_e32 v0, 0x3fb8aa3b, v48
	s_mov_b32 s0, 0x3fb8aa3b
	v_rndne_f32_e32 v1, v0
	v_sub_f32_e32 v36, v0, v1
	v_fma_f32 v0, v48, s0, -v0
	v_fmac_f32_e32 v0, 0x32a5705f, v48
	v_add_f32_e32 v0, v36, v0
	v_exp_f32_e32 v0, v0
	v_cvt_i32_f32_e32 v1, v1
	s_mov_b32 s0, 0xc2ce8ed0
	v_cmp_ngt_f32_e32 vcc, s0, v48
	s_mov_b32 s0, 0x42b17218
	v_ldexp_f32 v0, v0, v1
	v_cndmask_b32_e32 v0, 0, v0, vcc
	v_mov_b32_e32 v1, 0x7f800000
	v_cmp_nlt_f32_e32 vcc, s0, v48
	v_cndmask_b32_e32 v54, v1, v0, vcc
	v_add_f32_e32 v36, 1.0, v54
	v_add_f32_e32 v0, -1.0, v36
	v_sub_f32_e32 v1, v0, v36
	v_add_f32_e32 v1, 1.0, v1
	v_sub_f32_e32 v0, v54, v0
	v_add_f32_e32 v37, v0, v1
	v_frexp_mant_f32_e32 v40, v36
	s_mov_b32 s0, 0x3f2aaaab
	v_cvt_f64_f32_e32 v[0:1], v36
	v_frexp_exp_i32_f64_e32 v0, v[0:1]
	v_cmp_gt_f32_e32 vcc, s0, v40
	v_subbrev_co_u32_e32 v44, vcc, 0, v0, vcc
	v_sub_u32_e32 v0, 0, v44
	v_ldexp_f32 v1, v36, v0
	v_add_f32_e32 v36, -1.0, v1
	v_add_f32_e32 v40, 1.0, v1
	v_ldexp_f32 v0, v37, v0
	v_add_f32_e32 v37, 1.0, v36
	v_add_f32_e32 v41, -1.0, v40
	v_sub_f32_e32 v37, v1, v37
	v_sub_f32_e32 v1, v1, v41
	v_add_f32_e32 v37, v0, v37
	v_add_f32_e32 v0, v0, v1
	;; [unrolled: 1-line block ×3, first 2 shown]
	v_rcp_f32_e32 v47, v45
	v_sub_f32_e32 v1, v40, v45
	v_add_f32_e32 v46, v0, v1
	v_add_f32_e32 v1, v36, v37
	v_mul_f32_e32 v49, v1, v47
	v_sub_f32_e32 v0, v36, v1
	v_mul_f32_e32 v36, v45, v49
	v_fma_f32 v40, v49, v45, -v36
	v_fmac_f32_e32 v40, v49, v46
	v_add_f32_e32 v48, v37, v0
	v_add_f32_e32 v0, v36, v40
	v_sub_f32_e32 v37, v1, v0
	v_pk_add_f32 v[42:43], v[0:1], v[36:37] neg_lo:[0,1] neg_hi:[0,1]
	v_mov_b32_e32 v41, v0
	v_pk_add_f32 v[0:1], v[42:43], v[40:41] neg_lo:[0,1] neg_hi:[0,1]
	v_add_f32_e32 v1, v48, v1
	v_add_f32_e32 v0, v0, v1
	;; [unrolled: 1-line block ×3, first 2 shown]
	v_mul_f32_e32 v48, v47, v1
	v_mul_f32_e32 v36, v45, v48
	v_fma_f32 v40, v48, v45, -v36
	v_fmac_f32_e32 v40, v48, v46
	v_sub_f32_e32 v37, v37, v1
	v_add_f32_e32 v45, v0, v37
	v_add_f32_e32 v0, v36, v40
	v_sub_f32_e32 v37, v1, v0
	v_pk_add_f32 v[42:43], v[0:1], v[36:37] neg_lo:[0,1] neg_hi:[0,1]
	v_mov_b32_e32 v41, v0
	v_pk_add_f32 v[0:1], v[42:43], v[40:41] neg_lo:[0,1] neg_hi:[0,1]
	v_add_f32_e32 v1, v45, v1
	v_add_f32_e32 v0, v0, v1
	;; [unrolled: 1-line block ×4, first 2 shown]
	v_sub_f32_e32 v1, v37, v49
	v_mul_f32_e32 v0, v47, v0
	v_sub_f32_e32 v1, v48, v1
	v_add_f32_e32 v0, v1, v0
	v_add_f32_e32 v40, v37, v0
	v_mul_f32_e32 v42, v40, v40
	v_mov_b32_e32 v36, 0x3ecc95a3
	v_fmac_f32_e32 v36, 0x3e9b6dac, v42
	v_mov_b32_e32 v1, 0x3f2aaada
	v_fmac_f32_e32 v1, v42, v36
	v_cvt_f32_i32_e32 v36, v44
	v_sub_f32_e32 v37, v40, v37
	v_sub_f32_e32 v0, v0, v37
	v_ldexp_f32 v43, v0, 1
	v_mul_f32_e32 v37, v40, v42
	v_mov_b32_e32 v0, 0x3f317218
	s_mov_b32 s0, 0x3f317218
	v_pk_mul_f32 v[0:1], v[36:37], v[0:1]
	v_ldexp_f32 v41, v40, 1
	v_fma_f32 v40, v36, s0, -v0
	v_fmac_f32_e32 v40, 0xb102e308, v36
	v_pk_add_f32 v[36:37], v[0:1], v[40:41]
	v_sub_f32_e32 v41, v37, v41
	v_sub_f32_e32 v41, v1, v41
	v_add_f32_e32 v43, v43, v41
	v_mov_b32_e32 v42, v0
	v_pk_add_f32 v[0:1], v[36:37], v[0:1] neg_lo:[0,1] neg_hi:[0,1]
	v_pk_add_f32 v[44:45], v[36:37], v[42:43]
	v_mov_b32_e32 v1, v45
	v_mov_b32_e32 v41, v36
	v_pk_add_f32 v[46:47], v[40:41], v[0:1] neg_lo:[0,1] neg_hi:[0,1]
	v_pk_add_f32 v[0:1], v[40:41], v[0:1]
	v_mov_b32_e32 v40, v1
	v_pk_add_f32 v[48:49], v[40:41], v[36:37] neg_lo:[0,1] neg_hi:[0,1]
	v_mov_b32_e32 v41, v48
	v_pk_add_f32 v[50:51], v[44:45], v[40:41] neg_lo:[0,1] neg_hi:[0,1]
	v_mov_b32_e32 v0, v45
	v_mov_b32_e32 v44, v37
	;; [unrolled: 1-line block ×4, first 2 shown]
	v_pk_add_f32 v[0:1], v[0:1], v[44:45] neg_lo:[0,1] neg_hi:[0,1]
	v_mov_b32_e32 v42, v43
	v_mov_b32_e32 v43, v36
	v_pk_add_f32 v[0:1], v[42:43], v[0:1] neg_lo:[0,1] neg_hi:[0,1]
	v_mov_b32_e32 v50, v46
	v_pk_add_f32 v[36:37], v[50:51], v[0:1]
	v_mov_b32_e32 v42, v37
	v_pk_add_f32 v[42:43], v[36:37], v[42:43]
	v_pk_add_f32 v[40:41], v[40:41], v[42:43]
	v_mov_b32_e32 v37, v40
	v_pk_add_f32 v[44:45], v[36:37], v[46:47] neg_lo:[0,1] neg_hi:[0,1]
	v_mov_b32_e32 v1, v42
	v_sub_f32_e32 v36, v36, v44
	v_pk_add_f32 v[0:1], v[0:1], v[44:45] neg_lo:[0,1] neg_hi:[0,1]
	v_sub_f32_e32 v36, v46, v36
	s_mov_b32 s1, 0x7f800000
	v_add_f32_e32 v0, v0, v36
	s_mov_b32 s0, 0x33800000
	v_add_f32_e32 v0, v0, v1
	v_cmp_eq_f32_e32 vcc, s1, v54
	v_cmp_gt_f32_e64 s[0:1], s0, v54
	v_add_f32_e32 v0, v40, v0
	s_or_b64 vcc, s[0:1], vcc
	v_cndmask_b32_e32 v48, v0, v54, vcc
.LBB9_32:
	s_or_b64 exec, exec, s[2:3]
	v_mov_b32_e32 v1, s19
	v_add_co_u32_e32 v0, vcc, s18, v32
	v_addc_co_u32_e32 v1, vcc, v33, v1, vcc
	global_load_dword v49, v[0:1], off
	s_add_u32 s3, s22, s12
	s_mov_b32 s2, 0x3fb8aa3b
	v_add_co_u32_e32 v36, vcc, s4, v18
	s_mul_i32 s6, s6, s25
	v_mov_b32_e32 v66, 0
	s_mov_b32 s0, 0xc2ce8ed0
	s_mov_b32 s1, 0x42b17218
	v_mov_b32_e32 v67, 0x7f800000
	s_waitcnt vmcnt(0)
	v_pk_mul_f32 v[62:63], v[48:49], v[14:15] op_sel_hi:[0,1]
	v_pk_mul_f32 v[42:43], v[48:49], v[8:9] op_sel_hi:[0,1]
	v_mov_b32_e32 v8, s5
	v_mul_f32_e32 v18, 0x3fb8aa3b, v63
	s_addc_u32 s5, s23, s13
	v_addc_co_u32_e32 v37, vcc, v19, v8, vcc
	v_mul_f32_e32 v19, 0x3fb8aa3b, v62
	v_fma_f32 v68, v63, s2, -v18
	v_rndne_f32_e32 v70, v18
	s_add_u32 s3, s3, s6
	v_fma_f32 v69, v62, s2, -v19
	v_rndne_f32_e32 v71, v19
	v_fmac_f32_e32 v68, 0x32a5705f, v63
	v_sub_f32_e32 v18, v18, v70
	s_addc_u32 s4, s5, 0
	v_fmac_f32_e32 v69, 0x32a5705f, v62
	v_sub_f32_e32 v19, v19, v71
	v_add_f32_e32 v18, v18, v68
	v_cvt_i32_f32_e32 v70, v70
	s_add_u32 s3, s3, s34
	v_add_f32_e32 v19, v19, v69
	v_exp_f32_e32 v18, v18
	v_cvt_i32_f32_e32 v71, v71
	s_addc_u32 s4, s4, s33
	v_exp_f32_e32 v19, v19
	v_pk_mul_f32 v[16:17], v[48:49], v[16:17] op_sel_hi:[0,1]
	v_mov_b32_e32 v68, s4
	v_add_co_u32_e32 v34, vcc, s3, v34
	v_mul_f32_e32 v64, 0x3fb8aa3b, v17
	v_addc_co_u32_e32 v35, vcc, v68, v35, vcc
	v_pk_mul_f32 v[50:51], v[48:49], v[10:11] op_sel_hi:[0,1]
	v_pk_mul_f32 v[46:47], v[48:49], v[12:13] op_sel_hi:[0,1]
	;; [unrolled: 1-line block ×5, first 2 shown]
	ds_read_b128 v[54:57], v66 offset:64
	ds_read_b128 v[12:15], v66 offset:80
	;; [unrolled: 1-line block ×4, first 2 shown]
	ds_read_b128 v[8:11], v66
	ds_read_b128 v[58:61], v66 offset:16
	v_fma_f32 v72, v17, s2, -v64
	v_rndne_f32_e32 v73, v64
	v_ldexp_f32 v18, v18, v70
	v_cmp_ngt_f32_e32 vcc, s0, v63
	v_mul_f32_e32 v65, 0x3fb8aa3b, v16
	v_fmac_f32_e32 v72, 0x32a5705f, v17
	v_sub_f32_e32 v64, v64, v73
	v_ldexp_f32 v19, v19, v71
	v_cndmask_b32_e32 v18, 0, v18, vcc
	v_cmp_ngt_f32_e32 vcc, s0, v62
	v_fma_f32 v74, v16, s2, -v65
	v_rndne_f32_e32 v75, v65
	v_add_f32_e32 v64, v64, v72
	v_cndmask_b32_e32 v68, 0, v19, vcc
	v_cmp_nlt_f32_e32 vcc, s1, v63
	v_cvt_i32_f32_e32 v73, v73
	v_fmac_f32_e32 v74, 0x32a5705f, v16
	v_sub_f32_e32 v65, v65, v75
	v_exp_f32_e32 v64, v64
	v_cndmask_b32_e32 v19, v67, v18, vcc
	v_cmp_nlt_f32_e32 vcc, s1, v62
	v_mul_f32_e32 v48, v48, v49
	v_add_f32_e32 v65, v65, v74
	v_cndmask_b32_e32 v18, v67, v68, vcc
	s_waitcnt lgkmcnt(1)
	v_pk_mul_f32 v[8:9], v[48:49], v[8:9] op_sel_hi:[0,1]
	v_pk_fma_f32 v[8:9], v[52:53], v[18:19], v[8:9]
	v_exp_f32_e32 v18, v65
	v_cvt_i32_f32_e32 v19, v75
	v_ldexp_f32 v49, v64, v73
	v_cmp_ngt_f32_e32 vcc, s0, v17
	v_cndmask_b32_e32 v49, 0, v49, vcc
	v_cmp_nlt_f32_e32 vcc, s1, v17
	v_ldexp_f32 v18, v18, v19
	v_cndmask_b32_e32 v53, v67, v49, vcc
	v_cmp_ngt_f32_e32 vcc, s0, v16
	v_cndmask_b32_e32 v17, 0, v18, vcc
	v_cmp_nlt_f32_e32 vcc, s1, v16
	v_cndmask_b32_e32 v52, v67, v17, vcc
	v_pk_mul_f32 v[10:11], v[48:49], v[10:11] op_sel_hi:[0,1]
	v_pk_fma_f32 v[10:11], v[30:31], v[52:53], v[10:11]
	v_mul_f32_e32 v30, 0x3fb8aa3b, v51
	v_fma_f32 v31, v51, s2, -v30
	v_rndne_f32_e32 v52, v30
	v_fmac_f32_e32 v31, 0x32a5705f, v51
	v_sub_f32_e32 v30, v30, v52
	v_add_f32_e32 v30, v30, v31
	v_exp_f32_e32 v30, v30
	v_cvt_i32_f32_e32 v31, v52
	v_fma_f32 v49, v54, v8, 0
	v_cmp_ngt_f32_e32 vcc, s0, v51
	v_fmac_f32_e32 v49, v55, v9
	v_ldexp_f32 v30, v30, v31
	v_mul_f32_e32 v31, 0x3fb8aa3b, v50
	v_fma_f32 v52, v50, s2, -v31
	v_rndne_f32_e32 v53, v31
	v_fmac_f32_e32 v52, 0x32a5705f, v50
	v_sub_f32_e32 v31, v31, v53
	v_add_f32_e32 v31, v31, v52
	v_exp_f32_e32 v52, v31
	v_cvt_i32_f32_e32 v53, v53
	v_cndmask_b32_e32 v30, 0, v30, vcc
	v_cmp_nlt_f32_e32 vcc, s1, v51
	v_fmac_f32_e32 v49, v56, v10
	v_cndmask_b32_e32 v31, v67, v30, vcc
	v_ldexp_f32 v30, v52, v53
	v_cmp_ngt_f32_e32 vcc, s0, v50
	v_fmac_f32_e32 v49, v57, v11
	v_cndmask_b32_e32 v30, 0, v30, vcc
	v_cmp_nlt_f32_e32 vcc, s1, v50
	v_cndmask_b32_e32 v30, v67, v30, vcc
	s_waitcnt lgkmcnt(0)
	v_pk_mul_f32 v[50:51], v[48:49], v[58:59] op_sel_hi:[0,1]
	v_mul_f32_e32 v52, 0x3fb8aa3b, v47
	v_pk_fma_f32 v[26:27], v[26:27], v[30:31], v[50:51]
	v_fma_f32 v53, v47, s2, -v52
	v_rndne_f32_e32 v54, v52
	v_fmac_f32_e32 v49, v12, v26
	v_fmac_f32_e32 v53, 0x32a5705f, v47
	v_sub_f32_e32 v52, v52, v54
	v_fmac_f32_e32 v49, v13, v27
	v_mul_f32_e32 v13, 0x3fb8aa3b, v46
	v_add_f32_e32 v52, v52, v53
	v_fma_f32 v30, v46, s2, -v13
	v_rndne_f32_e32 v31, v13
	v_exp_f32_e32 v52, v52
	v_cvt_i32_f32_e32 v53, v54
	v_fmac_f32_e32 v30, 0x32a5705f, v46
	v_sub_f32_e32 v13, v13, v31
	v_add_f32_e32 v13, v13, v30
	v_exp_f32_e32 v30, v13
	v_cvt_i32_f32_e32 v31, v31
	v_ldexp_f32 v12, v52, v53
	v_cmp_ngt_f32_e32 vcc, s0, v47
	v_cndmask_b32_e32 v12, 0, v12, vcc
	v_cmp_nlt_f32_e32 vcc, s1, v47
	v_cndmask_b32_e32 v13, v67, v12, vcc
	v_ldexp_f32 v12, v30, v31
	v_cmp_ngt_f32_e32 vcc, s0, v46
	v_cndmask_b32_e32 v12, 0, v12, vcc
	v_cmp_nlt_f32_e32 vcc, s1, v46
	v_cndmask_b32_e32 v12, v67, v12, vcc
	v_pk_mul_f32 v[30:31], v[48:49], v[60:61] op_sel_hi:[0,1]
	v_mul_f32_e32 v46, 0x3fb8aa3b, v45
	v_fma_f32 v47, v45, s2, -v46
	v_rndne_f32_e32 v50, v46
	v_pk_fma_f32 v[28:29], v[28:29], v[12:13], v[30:31]
	v_fmac_f32_e32 v47, 0x32a5705f, v45
	v_sub_f32_e32 v46, v46, v50
	v_fmac_f32_e32 v49, v14, v28
	v_mul_f32_e32 v13, 0x3fb8aa3b, v44
	v_add_f32_e32 v46, v46, v47
	v_fmac_f32_e32 v49, v15, v29
	v_fma_f32 v14, v44, s2, -v13
	v_rndne_f32_e32 v15, v13
	v_exp_f32_e32 v46, v46
	v_cvt_i32_f32_e32 v47, v50
	v_fmac_f32_e32 v14, 0x32a5705f, v44
	v_sub_f32_e32 v13, v13, v15
	v_add_f32_e32 v13, v13, v14
	v_exp_f32_e32 v14, v13
	v_cvt_i32_f32_e32 v15, v15
	ds_read_b128 v[62:65], v66 offset:32
	ds_read_b128 v[16:19], v66 offset:48
	v_ldexp_f32 v12, v46, v47
	v_cmp_ngt_f32_e32 vcc, s0, v45
	v_cndmask_b32_e32 v12, 0, v12, vcc
	v_cmp_nlt_f32_e32 vcc, s1, v45
	v_cndmask_b32_e32 v13, v67, v12, vcc
	v_ldexp_f32 v12, v14, v15
	v_cmp_ngt_f32_e32 vcc, s0, v44
	v_cndmask_b32_e32 v12, 0, v12, vcc
	v_cmp_nlt_f32_e32 vcc, s1, v44
	v_cndmask_b32_e32 v12, v67, v12, vcc
	s_waitcnt lgkmcnt(1)
	v_pk_mul_f32 v[14:15], v[48:49], v[62:63] op_sel_hi:[0,1]
	v_mul_f32_e32 v30, 0x3fb8aa3b, v43
	v_pk_fma_f32 v[12:13], v[22:23], v[12:13], v[14:15]
	v_fma_f32 v31, v43, s2, -v30
	v_rndne_f32_e32 v44, v30
	v_fmac_f32_e32 v49, v4, v12
	v_fmac_f32_e32 v31, 0x32a5705f, v43
	v_sub_f32_e32 v30, v30, v44
	v_fmac_f32_e32 v49, v5, v13
	v_mul_f32_e32 v5, 0x3fb8aa3b, v42
	v_add_f32_e32 v30, v30, v31
	v_fma_f32 v14, v42, s2, -v5
	v_rndne_f32_e32 v15, v5
	v_exp_f32_e32 v30, v30
	v_cvt_i32_f32_e32 v31, v44
	v_fmac_f32_e32 v14, 0x32a5705f, v42
	v_sub_f32_e32 v5, v5, v15
	v_add_f32_e32 v5, v5, v14
	v_exp_f32_e32 v14, v5
	v_cvt_i32_f32_e32 v15, v15
	v_ldexp_f32 v4, v30, v31
	v_cmp_ngt_f32_e32 vcc, s0, v43
	v_cndmask_b32_e32 v4, 0, v4, vcc
	v_cmp_nlt_f32_e32 vcc, s1, v43
	v_cndmask_b32_e32 v5, v67, v4, vcc
	v_ldexp_f32 v4, v14, v15
	v_cmp_ngt_f32_e32 vcc, s0, v42
	v_cndmask_b32_e32 v4, 0, v4, vcc
	v_cmp_nlt_f32_e32 vcc, s1, v42
	v_cndmask_b32_e32 v4, v67, v4, vcc
	v_pk_mul_f32 v[14:15], v[48:49], v[64:65] op_sel_hi:[0,1]
	v_mul_f32_e32 v22, 0x3fb8aa3b, v41
	v_fma_f32 v23, v41, s2, -v22
	v_rndne_f32_e32 v30, v22
	v_pk_fma_f32 v[14:15], v[38:39], v[4:5], v[14:15]
	v_fmac_f32_e32 v23, 0x32a5705f, v41
	v_sub_f32_e32 v22, v22, v30
	v_fmac_f32_e32 v49, v6, v14
	v_mul_f32_e32 v5, 0x3fb8aa3b, v40
	v_add_f32_e32 v22, v22, v23
	v_fmac_f32_e32 v49, v7, v15
	v_fma_f32 v6, v40, s2, -v5
	v_rndne_f32_e32 v7, v5
	v_exp_f32_e32 v22, v22
	v_cvt_i32_f32_e32 v23, v30
	v_fmac_f32_e32 v6, 0x32a5705f, v40
	v_sub_f32_e32 v5, v5, v7
	v_add_f32_e32 v5, v5, v6
	v_exp_f32_e32 v6, v5
	v_cvt_i32_f32_e32 v7, v7
	v_ldexp_f32 v4, v22, v23
	v_cmp_ngt_f32_e32 vcc, s0, v41
	v_cndmask_b32_e32 v4, 0, v4, vcc
	v_cmp_nlt_f32_e32 vcc, s1, v41
	v_cndmask_b32_e32 v5, v67, v4, vcc
	v_ldexp_f32 v4, v6, v7
	v_cmp_ngt_f32_e32 vcc, s0, v40
	v_cndmask_b32_e32 v4, 0, v4, vcc
	v_cmp_nlt_f32_e32 vcc, s1, v40
	v_cndmask_b32_e32 v4, v67, v4, vcc
	s_waitcnt lgkmcnt(0)
	v_pk_mul_f32 v[6:7], v[48:49], v[16:17] op_sel_hi:[0,1]
	v_mul_f32_e32 v16, 0x3fb8aa3b, v33
	v_pk_fma_f32 v[4:5], v[24:25], v[4:5], v[6:7]
	v_fma_f32 v17, v33, s2, -v16
	v_rndne_f32_e32 v22, v16
	v_fmac_f32_e32 v49, v0, v4
	v_fmac_f32_e32 v17, 0x32a5705f, v33
	v_sub_f32_e32 v16, v16, v22
	v_fmac_f32_e32 v49, v1, v5
	v_mul_f32_e32 v1, 0x3fb8aa3b, v32
	v_add_f32_e32 v16, v16, v17
	v_fma_f32 v6, v32, s2, -v1
	v_rndne_f32_e32 v7, v1
	v_exp_f32_e32 v16, v16
	v_cvt_i32_f32_e32 v17, v22
	v_fmac_f32_e32 v6, 0x32a5705f, v32
	v_sub_f32_e32 v1, v1, v7
	v_add_f32_e32 v1, v1, v6
	v_exp_f32_e32 v6, v1
	v_cvt_i32_f32_e32 v7, v7
	v_ldexp_f32 v0, v16, v17
	v_cmp_ngt_f32_e32 vcc, s0, v33
	v_cndmask_b32_e32 v0, 0, v0, vcc
	v_cmp_nlt_f32_e32 vcc, s1, v33
	v_cndmask_b32_e32 v1, v67, v0, vcc
	v_ldexp_f32 v0, v6, v7
	v_cmp_ngt_f32_e32 vcc, s0, v32
	v_cndmask_b32_e32 v0, 0, v0, vcc
	v_cmp_nlt_f32_e32 vcc, s1, v32
	v_cndmask_b32_e32 v0, v67, v0, vcc
	v_pk_mul_f32 v[6:7], v[48:49], v[18:19] op_sel_hi:[0,1]
	v_pk_fma_f32 v[6:7], v[20:21], v[0:1], v[6:7]
	v_fmac_f32_e32 v49, v2, v6
	v_fmac_f32_e32 v49, v3, v7
	global_store_dword v[36:37], v49, off
	s_barrier
	global_store_dwordx4 v[34:35], v[8:11], off
	global_store_dwordx4 v[34:35], v[26:29], off offset:16
	global_store_dwordx4 v[34:35], v[12:15], off offset:32
	;; [unrolled: 1-line block ×3, first 2 shown]
	s_endpgm
	.section	.rodata,"a",@progbits
	.p2align	6, 0x0
	.amdhsa_kernel _Z12ssm_scan_f32ILm128ELm16ELm8EEvPKfS1_S1_S1_S1_S1_PKiPfiiiiiiiiiiilll
		.amdhsa_group_segment_fixed_size 128
		.amdhsa_private_segment_fixed_size 0
		.amdhsa_kernarg_size 136
		.amdhsa_user_sgpr_count 6
		.amdhsa_user_sgpr_private_segment_buffer 1
		.amdhsa_user_sgpr_dispatch_ptr 0
		.amdhsa_user_sgpr_queue_ptr 0
		.amdhsa_user_sgpr_kernarg_segment_ptr 1
		.amdhsa_user_sgpr_dispatch_id 0
		.amdhsa_user_sgpr_flat_scratch_init 0
		.amdhsa_user_sgpr_kernarg_preload_length 0
		.amdhsa_user_sgpr_kernarg_preload_offset 0
		.amdhsa_user_sgpr_private_segment_size 0
		.amdhsa_uses_dynamic_stack 0
		.amdhsa_system_sgpr_private_segment_wavefront_offset 0
		.amdhsa_system_sgpr_workgroup_id_x 1
		.amdhsa_system_sgpr_workgroup_id_y 1
		.amdhsa_system_sgpr_workgroup_id_z 0
		.amdhsa_system_sgpr_workgroup_info 0
		.amdhsa_system_vgpr_workitem_id 0
		.amdhsa_next_free_vgpr 95
		.amdhsa_next_free_sgpr 40
		.amdhsa_accum_offset 96
		.amdhsa_reserve_vcc 1
		.amdhsa_reserve_flat_scratch 0
		.amdhsa_float_round_mode_32 0
		.amdhsa_float_round_mode_16_64 0
		.amdhsa_float_denorm_mode_32 3
		.amdhsa_float_denorm_mode_16_64 3
		.amdhsa_dx10_clamp 1
		.amdhsa_ieee_mode 1
		.amdhsa_fp16_overflow 0
		.amdhsa_tg_split 0
		.amdhsa_exception_fp_ieee_invalid_op 0
		.amdhsa_exception_fp_denorm_src 0
		.amdhsa_exception_fp_ieee_div_zero 0
		.amdhsa_exception_fp_ieee_overflow 0
		.amdhsa_exception_fp_ieee_underflow 0
		.amdhsa_exception_fp_ieee_inexact 0
		.amdhsa_exception_int_div_zero 0
	.end_amdhsa_kernel
	.section	.text._Z12ssm_scan_f32ILm128ELm16ELm8EEvPKfS1_S1_S1_S1_S1_PKiPfiiiiiiiiiiilll,"axG",@progbits,_Z12ssm_scan_f32ILm128ELm16ELm8EEvPKfS1_S1_S1_S1_S1_PKiPfiiiiiiiiiiilll,comdat
.Lfunc_end9:
	.size	_Z12ssm_scan_f32ILm128ELm16ELm8EEvPKfS1_S1_S1_S1_S1_PKiPfiiiiiiiiiiilll, .Lfunc_end9-_Z12ssm_scan_f32ILm128ELm16ELm8EEvPKfS1_S1_S1_S1_S1_PKiPfiiiiiiiiiiilll
                                        ; -- End function
	.section	.AMDGPU.csdata,"",@progbits
; Kernel info:
; codeLenInByte = 21836
; NumSgprs: 44
; NumVgprs: 95
; NumAgprs: 0
; TotalNumVgprs: 95
; ScratchSize: 0
; MemoryBound: 0
; FloatMode: 240
; IeeeMode: 1
; LDSByteSize: 128 bytes/workgroup (compile time only)
; SGPRBlocks: 5
; VGPRBlocks: 11
; NumSGPRsForWavesPerEU: 44
; NumVGPRsForWavesPerEU: 95
; AccumOffset: 96
; Occupancy: 5
; WaveLimiterHint : 1
; COMPUTE_PGM_RSRC2:SCRATCH_EN: 0
; COMPUTE_PGM_RSRC2:USER_SGPR: 6
; COMPUTE_PGM_RSRC2:TRAP_HANDLER: 0
; COMPUTE_PGM_RSRC2:TGID_X_EN: 1
; COMPUTE_PGM_RSRC2:TGID_Y_EN: 1
; COMPUTE_PGM_RSRC2:TGID_Z_EN: 0
; COMPUTE_PGM_RSRC2:TIDIG_COMP_CNT: 0
; COMPUTE_PGM_RSRC3_GFX90A:ACCUM_OFFSET: 23
; COMPUTE_PGM_RSRC3_GFX90A:TG_SPLIT: 0
	.section	.text._Z12ssm_scan_f32ILm128ELm16ELm0EEvPKfS1_S1_S1_S1_S1_PKiPfiiiiiiiiiiilll,"axG",@progbits,_Z12ssm_scan_f32ILm128ELm16ELm0EEvPKfS1_S1_S1_S1_S1_PKiPfiiiiiiiiiiilll,comdat
	.protected	_Z12ssm_scan_f32ILm128ELm16ELm0EEvPKfS1_S1_S1_S1_S1_PKiPfiiiiiiiiiiilll ; -- Begin function _Z12ssm_scan_f32ILm128ELm16ELm0EEvPKfS1_S1_S1_S1_S1_PKiPfiiiiiiiiiiilll
	.globl	_Z12ssm_scan_f32ILm128ELm16ELm0EEvPKfS1_S1_S1_S1_S1_PKiPfiiiiiiiiiiilll
	.p2align	8
	.type	_Z12ssm_scan_f32ILm128ELm16ELm0EEvPKfS1_S1_S1_S1_S1_PKiPfiiiiiiiiiiilll,@function
_Z12ssm_scan_f32ILm128ELm16ELm0EEvPKfS1_S1_S1_S1_S1_PKiPfiiiiiiiiiiilll: ; @_Z12ssm_scan_f32ILm128ELm16ELm0EEvPKfS1_S1_S1_S1_S1_PKiPfiiiiiiiiiiilll
; %bb.0:
	s_load_dwordx16 s[8:23], s[4:5], 0x0
	s_load_dwordx8 s[24:31], s[4:5], 0x40
	s_mov_b32 s34, s7
	s_mov_b32 s7, 0
	s_lshl_b64 s[0:1], s[6:7], 2
	s_waitcnt lgkmcnt(0)
	s_add_u32 s0, s20, s0
	s_addc_u32 s1, s21, s1
	s_load_dword s0, s[0:1], 0x0
	s_mov_b32 s35, s7
	v_mov_b32_e32 v37, 0
	s_waitcnt lgkmcnt(0)
	s_mul_i32 s0, s0, s25
	s_ashr_i32 s1, s0, 31
	s_add_u32 s0, s8, s0
	s_addc_u32 s1, s9, s1
	s_lshl_b64 s[8:9], s[34:35], 7
	s_ashr_i32 s2, s24, 31
	s_mul_i32 s2, s8, s2
	s_mul_hi_u32 s3, s8, s24
	s_add_i32 s2, s3, s2
	s_lshr_b32 s3, s34, 25
	s_mul_i32 s3, s3, s24
	s_add_i32 s7, s2, s3
	s_mul_i32 s33, s8, s24
	s_add_u32 s0, s0, s33
	s_addc_u32 s1, s1, s7
	s_ashr_i32 s2, s24, 2
	v_mul_lo_u32 v36, s2, v0
	v_lshlrev_b64 v[34:35], 2, v[36:37]
	v_mov_b32_e32 v1, s1
	v_add_co_u32_e32 v18, vcc, s0, v34
	v_addc_co_u32_e32 v19, vcc, v1, v35, vcc
	global_load_dwordx4 v[14:17], v[18:19], off
	global_load_dwordx4 v[10:13], v[18:19], off offset:16
	global_load_dwordx4 v[6:9], v[18:19], off offset:32
	;; [unrolled: 1-line block ×3, first 2 shown]
	s_load_dwordx2 s[20:21], s[4:5], 0x80
	s_load_dwordx4 s[36:39], s[4:5], 0x70
	s_waitcnt lgkmcnt(0)
	s_cmp_eq_u64 s[20:21], 0
	s_cbranch_scc1 .LBB10_7
; %bb.1:
	s_load_dwordx4 s[0:3], s[4:5], 0x60
	s_waitcnt lgkmcnt(0)
	s_ashr_i32 s3, s30, 31
	s_mul_hi_u32 s4, s8, s30
	s_mul_i32 s3, s8, s3
	s_add_i32 s3, s4, s3
	s_mul_i32 s4, s9, s30
	s_add_i32 s3, s3, s4
	s_mul_i32 s4, s8, s30
	s_add_u32 s4, s14, s4
	s_addc_u32 s3, s15, s3
	s_ashr_i32 s5, s30, 2
	v_mul_lo_u32 v36, s5, v0
	v_lshlrev_b64 v[18:19], 2, v[36:37]
	v_mov_b32_e32 v1, s3
	v_add_co_u32_e32 v38, vcc, s4, v18
	v_addc_co_u32_e32 v39, vcc, v1, v19, vcc
	global_load_dwordx4 v[18:21], v[38:39], off offset:48
	global_load_dwordx4 v[22:25], v[38:39], off offset:32
	;; [unrolled: 1-line block ×3, first 2 shown]
	global_load_dwordx4 v[30:33], v[38:39], off
	s_ashr_i32 s4, s1, 2
	s_mul_i32 s1, s6, s39
	s_mul_hi_u32 s3, s6, s38
	s_add_i32 s1, s3, s1
	s_mul_i32 s3, s6, s38
	s_mul_i32 s5, s3, s21
	s_mul_hi_u32 s9, s3, s20
	s_mul_i32 s1, s1, s20
	s_add_i32 s5, s9, s5
	s_add_i32 s15, s5, s1
	s_mul_i32 s14, s3, s20
	s_ashr_i32 s8, s28, 2
	s_lshl_b64 s[14:15], s[14:15], 2
	s_add_u32 s1, s22, s14
	s_addc_u32 s3, s23, s15
	s_lshl_b64 s[14:15], s[34:35], 9
	s_add_u32 s24, s1, s14
	s_addc_u32 s28, s3, s15
	s_mul_i32 s1, s6, s2
	s_add_u32 s9, s18, s1
	s_addc_u32 s18, s19, 0
	s_mul_i32 s0, s6, s0
	;; [unrolled: 3-line block ×3, first 2 shown]
	s_add_u32 s2, s12, s2
	s_addc_u32 s3, s13, 0
	v_lshlrev_b32_e32 v49, 2, v0
	s_add_u32 s13, s2, s14
	v_cmp_gt_u32_e32 vcc, 16, v0
	v_mov_b32_e32 v1, s1
	v_add_co_u32_e64 v0, s[0:1], s0, v49
	s_addc_u32 s16, s3, s15
	s_mul_i32 s2, s6, s27
	v_addc_co_u32_e64 v1, s[0:1], 0, v1, s[0:1]
	s_add_u32 s2, s10, s2
	v_mov_b32_e32 v36, s18
	v_add_co_u32_e64 v38, s[0:1], s9, v49
	s_addc_u32 s3, s11, 0
	v_addc_co_u32_e64 v39, s[0:1], 0, v36, s[0:1]
	s_add_u32 s10, s2, s14
	v_mov_b32_e32 v36, s16
	v_add_co_u32_e64 v40, s[0:1], s13, v49
	s_addc_u32 s11, s3, s15
	v_addc_co_u32_e64 v41, s[0:1], 0, v36, s[0:1]
	v_mov_b32_e32 v36, s11
	v_add_co_u32_e64 v42, s[0:1], s10, v49
	s_ashr_i32 s2, s31, 2
	s_ashr_i32 s12, s26, 2
	v_addc_co_u32_e64 v43, s[0:1], 0, v36, s[0:1]
	s_ashr_i32 s3, s2, 31
	s_ashr_i32 s5, s4, 31
	;; [unrolled: 1-line block ×4, first 2 shown]
	s_bfe_i64 s[10:11], s[38:39], 0x200000
	v_mov_b32_e32 v36, s28
	v_add_co_u32_e64 v44, s[0:1], s24, v49
	v_add_u32_e32 v50, 64, v49
	v_addc_co_u32_e64 v45, s[0:1], 0, v36, s[0:1]
	s_lshl_b64 s[10:11], s[10:11], 2
	s_lshl_b64 s[12:13], s[12:13], 2
	;; [unrolled: 1-line block ×5, first 2 shown]
	s_mov_b32 s24, 0x41a00000
	s_mov_b32 s26, 0x3fb8aa3b
	;; [unrolled: 1-line block ×6, first 2 shown]
	v_mov_b32_e32 v51, 0x3f2aaada
	s_mov_b32 s31, 0x3f317218
	s_mov_b32 s34, 0x33800000
	v_mov_b32_e32 v52, 0x7f800000
	v_mov_b32_e32 v46, 0x3f317218
	s_branch .LBB10_3
.LBB10_2:                               ;   in Loop: Header=BB10_3 Depth=1
	s_or_b64 exec, exec, s[4:5]
	v_pk_mul_f32 v[54:55], v[36:37], v[30:31] op_sel_hi:[0,1]
	v_mul_f32_e32 v48, 0x3fb8aa3b, v54
	v_fma_f32 v56, v54, s26, -v48
	v_fmac_f32_e32 v56, 0x32a5705f, v54
	v_cmp_ngt_f32_e64 s[2:3], s27, v54
	v_cmp_nlt_f32_e64 s[4:5], s28, v54
	global_load_dword v54, v[42:43], off
	v_mul_f32_e32 v47, 0x3fb8aa3b, v55
	v_fma_f32 v53, v55, s26, -v47
	v_fmac_f32_e32 v53, 0x32a5705f, v55
	v_cmp_ngt_f32_e64 s[0:1], s27, v55
	v_cmp_nlt_f32_e64 s[8:9], s28, v55
	v_rndne_f32_e32 v55, v47
	v_sub_f32_e32 v47, v47, v55
	v_add_f32_e32 v47, v47, v53
	v_rndne_f32_e32 v53, v48
	v_sub_f32_e32 v48, v48, v53
	v_add_f32_e32 v48, v48, v56
	v_cvt_i32_f32_e32 v53, v53
	v_exp_f32_e32 v48, v48
	v_cvt_i32_f32_e32 v55, v55
	v_exp_f32_e32 v47, v47
	s_add_u32 s20, s20, -1
	v_ldexp_f32 v48, v48, v53
	v_cndmask_b32_e64 v48, 0, v48, s[2:3]
	v_ldexp_f32 v47, v47, v55
	v_cndmask_b32_e64 v58, v52, v48, s[4:5]
	v_cndmask_b32_e64 v47, 0, v47, s[0:1]
	;; [unrolled: 1-line block ×3, first 2 shown]
	s_addc_u32 s21, s21, -1
	s_cmp_eq_u64 s[20:21], 0
	s_waitcnt vmcnt(0)
	v_mul_f32_e32 v48, v36, v54
	ds_read_b128 v[54:57], v37
	s_waitcnt lgkmcnt(0)
	v_pk_mul_f32 v[54:55], v[48:49], v[54:55] op_sel_hi:[0,1]
	v_pk_fma_f32 v[14:15], v[14:15], v[58:59], v[54:55]
	v_pk_mul_f32 v[54:55], v[36:37], v[32:33] op_sel_hi:[0,1]
	v_mul_f32_e32 v47, 0x3fb8aa3b, v55
	v_mul_f32_e32 v58, 0x3fb8aa3b, v54
	v_fma_f32 v53, v55, s26, -v47
	v_fma_f32 v59, v54, s26, -v58
	v_cmp_ngt_f32_e64 s[0:1], s27, v55
	v_cmp_ngt_f32_e64 s[2:3], s27, v54
	v_cmp_nlt_f32_e64 s[4:5], s28, v54
	v_cmp_nlt_f32_e64 s[8:9], s28, v55
	v_fmac_f32_e32 v53, 0x32a5705f, v55
	v_fmac_f32_e32 v59, 0x32a5705f, v54
	v_pk_mul_f32 v[54:55], v[48:49], v[56:57] op_sel_hi:[0,1]
	v_rndne_f32_e32 v56, v47
	v_sub_f32_e32 v47, v47, v56
	v_add_f32_e32 v47, v47, v53
	v_cvt_i32_f32_e32 v56, v56
	v_exp_f32_e32 v47, v47
	v_rndne_f32_e32 v53, v58
	v_sub_f32_e32 v57, v58, v53
	v_add_f32_e32 v57, v57, v59
	v_ldexp_f32 v47, v47, v56
	v_cvt_i32_f32_e32 v53, v53
	v_exp_f32_e32 v56, v57
	v_cndmask_b32_e64 v47, 0, v47, s[0:1]
	v_cndmask_b32_e64 v57, v52, v47, s[8:9]
	v_ldexp_f32 v53, v56, v53
	v_cndmask_b32_e64 v53, 0, v53, s[2:3]
	v_cndmask_b32_e64 v56, v52, v53, s[4:5]
	v_pk_fma_f32 v[16:17], v[16:17], v[56:57], v[54:55]
	ds_read_b128 v[54:57], v37 offset:64
	s_waitcnt lgkmcnt(0)
	v_fma_f32 v47, v54, v14, 0
	v_fmac_f32_e32 v47, v55, v15
	v_pk_mul_f32 v[54:55], v[36:37], v[26:27] op_sel_hi:[0,1]
	v_mul_f32_e32 v53, 0x3fb8aa3b, v55
	v_fmac_f32_e32 v47, v56, v16
	v_fma_f32 v56, v55, s26, -v53
	v_cmp_ngt_f32_e64 s[0:1], s27, v55
	v_cmp_nlt_f32_e64 s[8:9], s28, v55
	v_fmac_f32_e32 v56, 0x32a5705f, v55
	v_mul_f32_e32 v55, 0x3fb8aa3b, v54
	v_fmac_f32_e32 v47, v57, v17
	v_fma_f32 v57, v54, s26, -v55
	v_cmp_ngt_f32_e64 s[2:3], s27, v54
	v_cmp_nlt_f32_e64 s[4:5], s28, v54
	v_fmac_f32_e32 v57, 0x32a5705f, v54
	v_rndne_f32_e32 v54, v53
	v_sub_f32_e32 v53, v53, v54
	v_add_f32_e32 v53, v53, v56
	v_cvt_i32_f32_e32 v54, v54
	v_exp_f32_e32 v53, v53
	v_rndne_f32_e32 v56, v55
	v_sub_f32_e32 v55, v55, v56
	v_add_f32_e32 v55, v55, v57
	v_ldexp_f32 v53, v53, v54
	v_cvt_i32_f32_e32 v54, v56
	v_exp_f32_e32 v55, v55
	v_cndmask_b32_e64 v53, 0, v53, s[0:1]
	v_cndmask_b32_e64 v59, v52, v53, s[8:9]
	v_ldexp_f32 v54, v55, v54
	v_cndmask_b32_e64 v54, 0, v54, s[2:3]
	v_cndmask_b32_e64 v58, v52, v54, s[4:5]
	ds_read_b128 v[54:57], v37 offset:16
	s_waitcnt lgkmcnt(0)
	v_pk_mul_f32 v[54:55], v[48:49], v[54:55] op_sel_hi:[0,1]
	v_pk_fma_f32 v[10:11], v[10:11], v[58:59], v[54:55]
	v_pk_mul_f32 v[54:55], v[36:37], v[28:29] op_sel_hi:[0,1]
	v_mul_f32_e32 v53, 0x3fb8aa3b, v55
	v_mul_f32_e32 v59, 0x3fb8aa3b, v54
	v_fma_f32 v58, v55, s26, -v53
	v_fma_f32 v60, v54, s26, -v59
	v_fmac_f32_e32 v58, 0x32a5705f, v55
	v_fmac_f32_e32 v60, 0x32a5705f, v54
	v_cmp_ngt_f32_e64 s[0:1], s27, v55
	v_cmp_ngt_f32_e64 s[2:3], s27, v54
	v_cmp_nlt_f32_e64 s[4:5], s28, v54
	v_cmp_nlt_f32_e64 s[8:9], s28, v55
	v_pk_mul_f32 v[54:55], v[48:49], v[56:57] op_sel_hi:[0,1]
	v_rndne_f32_e32 v56, v53
	v_sub_f32_e32 v53, v53, v56
	v_add_f32_e32 v53, v53, v58
	v_exp_f32_e32 v53, v53
	v_cvt_i32_f32_e32 v56, v56
	v_ldexp_f32 v53, v53, v56
	v_rndne_f32_e32 v56, v59
	v_sub_f32_e32 v57, v59, v56
	v_add_f32_e32 v57, v57, v60
	v_exp_f32_e32 v57, v57
	v_cvt_i32_f32_e32 v56, v56
	v_cndmask_b32_e64 v53, 0, v53, s[0:1]
	v_ldexp_f32 v56, v57, v56
	v_cndmask_b32_e64 v56, 0, v56, s[2:3]
	v_cndmask_b32_e64 v57, v52, v53, s[8:9]
	;; [unrolled: 1-line block ×3, first 2 shown]
	v_pk_fma_f32 v[12:13], v[12:13], v[56:57], v[54:55]
	v_pk_mul_f32 v[54:55], v[36:37], v[22:23] op_sel_hi:[0,1]
	v_mul_f32_e32 v57, 0x3fb8aa3b, v54
	v_mul_f32_e32 v53, 0x3fb8aa3b, v55
	v_fma_f32 v58, v54, s26, -v57
	v_fma_f32 v56, v55, s26, -v53
	v_fmac_f32_e32 v58, 0x32a5705f, v54
	v_cmp_ngt_f32_e64 s[4:5], s27, v54
	v_cmp_nlt_f32_e64 s[8:9], s28, v54
	v_rndne_f32_e32 v54, v53
	v_fmac_f32_e32 v56, 0x32a5705f, v55
	v_sub_f32_e32 v53, v53, v54
	v_add_f32_e32 v53, v53, v56
	v_exp_f32_e32 v53, v53
	v_cvt_i32_f32_e32 v54, v54
	v_cmp_ngt_f32_e64 s[0:1], s27, v55
	v_cmp_nlt_f32_e64 s[2:3], s28, v55
	v_ldexp_f32 v53, v53, v54
	v_rndne_f32_e32 v54, v57
	v_sub_f32_e32 v55, v57, v54
	v_add_f32_e32 v55, v55, v58
	v_exp_f32_e32 v55, v55
	v_cvt_i32_f32_e32 v54, v54
	v_cndmask_b32_e64 v53, 0, v53, s[0:1]
	v_cndmask_b32_e64 v59, v52, v53, s[2:3]
	v_ldexp_f32 v54, v55, v54
	v_cndmask_b32_e64 v53, 0, v54, s[4:5]
	ds_read_b128 v[54:57], v37 offset:32
	v_cndmask_b32_e64 v58, v52, v53, s[8:9]
	s_waitcnt lgkmcnt(0)
	v_pk_mul_f32 v[54:55], v[48:49], v[54:55] op_sel_hi:[0,1]
	v_pk_fma_f32 v[6:7], v[6:7], v[58:59], v[54:55]
	v_pk_mul_f32 v[54:55], v[48:49], v[56:57] op_sel_hi:[0,1]
	v_pk_mul_f32 v[56:57], v[36:37], v[24:25] op_sel_hi:[0,1]
	v_mul_f32_e32 v59, 0x3fb8aa3b, v56
	v_mul_f32_e32 v53, 0x3fb8aa3b, v57
	v_fma_f32 v60, v56, s26, -v59
	v_fma_f32 v58, v57, s26, -v53
	v_fmac_f32_e32 v60, 0x32a5705f, v56
	v_cmp_ngt_f32_e64 s[2:3], s27, v56
	v_cmp_nlt_f32_e64 s[4:5], s28, v56
	v_rndne_f32_e32 v56, v53
	v_fmac_f32_e32 v58, 0x32a5705f, v57
	v_sub_f32_e32 v53, v53, v56
	v_add_f32_e32 v53, v53, v58
	v_exp_f32_e32 v53, v53
	v_cvt_i32_f32_e32 v56, v56
	v_cmp_ngt_f32_e64 s[0:1], s27, v57
	v_cmp_nlt_f32_e64 s[8:9], s28, v57
	v_ldexp_f32 v53, v53, v56
	v_rndne_f32_e32 v56, v59
	v_sub_f32_e32 v57, v59, v56
	v_add_f32_e32 v57, v57, v60
	v_exp_f32_e32 v57, v57
	v_cvt_i32_f32_e32 v56, v56
	v_cndmask_b32_e64 v53, 0, v53, s[0:1]
	v_ldexp_f32 v56, v57, v56
	v_cndmask_b32_e64 v56, 0, v56, s[2:3]
	v_cndmask_b32_e64 v57, v52, v53, s[8:9]
	v_cndmask_b32_e64 v56, v52, v56, s[4:5]
	v_pk_fma_f32 v[8:9], v[8:9], v[56:57], v[54:55]
	v_pk_mul_f32 v[54:55], v[36:37], v[18:19] op_sel_hi:[0,1]
	v_mul_f32_e32 v57, 0x3fb8aa3b, v54
	v_mul_f32_e32 v53, 0x3fb8aa3b, v55
	v_fma_f32 v58, v54, s26, -v57
	v_fma_f32 v56, v55, s26, -v53
	v_fmac_f32_e32 v58, 0x32a5705f, v54
	v_cmp_ngt_f32_e64 s[2:3], s27, v54
	v_cmp_nlt_f32_e64 s[4:5], s28, v54
	v_rndne_f32_e32 v54, v53
	v_fmac_f32_e32 v56, 0x32a5705f, v55
	v_sub_f32_e32 v53, v53, v54
	v_add_f32_e32 v53, v53, v56
	v_exp_f32_e32 v53, v53
	v_cvt_i32_f32_e32 v54, v54
	v_cmp_ngt_f32_e64 s[0:1], s27, v55
	v_cmp_nlt_f32_e64 s[8:9], s28, v55
	v_ldexp_f32 v53, v53, v54
	v_rndne_f32_e32 v54, v57
	v_sub_f32_e32 v55, v57, v54
	v_add_f32_e32 v55, v55, v58
	v_exp_f32_e32 v55, v55
	v_cvt_i32_f32_e32 v54, v54
	v_cndmask_b32_e64 v53, 0, v53, s[0:1]
	v_cndmask_b32_e64 v59, v52, v53, s[8:9]
	v_ldexp_f32 v54, v55, v54
	v_cndmask_b32_e64 v54, 0, v54, s[2:3]
	v_cndmask_b32_e64 v58, v52, v54, s[4:5]
	ds_read_b128 v[54:57], v37 offset:48
	s_waitcnt lgkmcnt(0)
	v_pk_mul_f32 v[54:55], v[48:49], v[54:55] op_sel_hi:[0,1]
	v_pk_fma_f32 v[2:3], v[2:3], v[58:59], v[54:55]
	v_pk_mul_f32 v[58:59], v[48:49], v[56:57] op_sel_hi:[0,1]
	ds_read_b128 v[54:57], v37 offset:80
	s_waitcnt lgkmcnt(0)
	v_pk_mul_f32 v[54:55], v[54:55], v[10:11]
	v_add_f32_e32 v47, v47, v54
	v_add_f32_e32 v47, v47, v55
	v_pk_mul_f32 v[54:55], v[56:57], v[12:13]
	v_add_f32_e32 v47, v47, v54
	v_add_f32_e32 v47, v47, v55
	ds_read_b128 v[54:57], v37 offset:96
	s_waitcnt lgkmcnt(0)
	v_pk_mul_f32 v[54:55], v[54:55], v[6:7]
	v_add_f32_e32 v47, v47, v54
	v_add_f32_e32 v47, v47, v55
	v_pk_mul_f32 v[54:55], v[36:37], v[20:21] op_sel_hi:[0,1]
	v_mul_f32_e32 v53, 0x3fb8aa3b, v54
	v_pk_mul_f32 v[60:61], v[56:57], v[8:9]
	v_mul_f32_e32 v36, 0x3fb8aa3b, v55
	v_fma_f32 v56, v54, s26, -v53
	v_fma_f32 v48, v55, s26, -v36
	v_fmac_f32_e32 v56, 0x32a5705f, v54
	v_cmp_ngt_f32_e64 s[2:3], s27, v54
	v_cmp_nlt_f32_e64 s[4:5], s28, v54
	v_rndne_f32_e32 v54, v36
	v_fmac_f32_e32 v48, 0x32a5705f, v55
	v_sub_f32_e32 v36, v36, v54
	v_add_f32_e32 v36, v36, v48
	v_exp_f32_e32 v36, v36
	v_cvt_i32_f32_e32 v48, v54
	v_cmp_ngt_f32_e64 s[0:1], s27, v55
	v_cmp_nlt_f32_e64 s[8:9], s28, v55
	v_ldexp_f32 v36, v36, v48
	v_rndne_f32_e32 v48, v53
	v_sub_f32_e32 v53, v53, v48
	v_add_f32_e32 v53, v53, v56
	v_exp_f32_e32 v53, v53
	v_cvt_i32_f32_e32 v48, v48
	v_cndmask_b32_e64 v36, 0, v36, s[0:1]
	v_cndmask_b32_e64 v55, v52, v36, s[8:9]
	v_add_f32_e32 v36, v47, v60
	v_ldexp_f32 v48, v53, v48
	v_cndmask_b32_e64 v48, 0, v48, s[2:3]
	v_cndmask_b32_e64 v54, v52, v48, s[4:5]
	v_pk_fma_f32 v[4:5], v[4:5], v[54:55], v[58:59]
	ds_read_b128 v[54:57], v37 offset:112
	v_add_f32_e32 v36, v36, v61
	s_waitcnt lgkmcnt(0)
	v_pk_mul_f32 v[54:55], v[54:55], v[2:3]
	v_add_f32_e32 v36, v36, v54
	v_add_f32_e32 v36, v36, v55
	v_pk_mul_f32 v[54:55], v[56:57], v[4:5]
	v_add_f32_e32 v36, v36, v54
	v_add_f32_e32 v36, v36, v55
	global_store_dword v[44:45], v36, off
	v_mov_b32_e32 v36, s11
	v_add_co_u32_e64 v44, s[0:1], s10, v44
	v_addc_co_u32_e64 v45, s[0:1], v45, v36, s[0:1]
	v_mov_b32_e32 v36, s13
	v_add_co_u32_e64 v42, s[0:1], s12, v42
	v_addc_co_u32_e64 v43, s[0:1], v43, v36, s[0:1]
	;; [unrolled: 3-line block ×5, first 2 shown]
	s_barrier
	s_cbranch_scc1 .LBB10_7
.LBB10_3:                               ; =>This Inner Loop Header: Depth=1
	s_and_saveexec_b64 s[0:1], vcc
	s_cbranch_execz .LBB10_5
; %bb.4:                                ;   in Loop: Header=BB10_3 Depth=1
	global_load_dword v36, v[0:1], off
	global_load_dword v47, v[38:39], off
	s_waitcnt vmcnt(1)
	ds_write_b32 v49, v36
	s_waitcnt vmcnt(0)
	ds_write_b32 v50, v47
.LBB10_5:                               ;   in Loop: Header=BB10_3 Depth=1
	s_or_b64 exec, exec, s[0:1]
	s_waitcnt lgkmcnt(0)
	s_barrier
	global_load_dword v36, v[40:41], off
	s_waitcnt vmcnt(0)
	v_cmp_ge_f32_e64 s[0:1], s24, v36
	s_and_saveexec_b64 s[4:5], s[0:1]
	s_cbranch_execz .LBB10_2
; %bb.6:                                ;   in Loop: Header=BB10_3 Depth=1
	v_mul_f32_e32 v47, 0x3fb8aa3b, v36
	v_rndne_f32_e32 v48, v47
	v_sub_f32_e32 v53, v47, v48
	v_fma_f32 v47, v36, s26, -v47
	v_fmac_f32_e32 v47, 0x32a5705f, v36
	v_add_f32_e32 v47, v53, v47
	v_cvt_i32_f32_e32 v48, v48
	v_exp_f32_e32 v47, v47
	v_cmp_ngt_f32_e64 s[0:1], s27, v36
	v_ldexp_f32 v47, v47, v48
	v_cndmask_b32_e64 v47, 0, v47, s[0:1]
	v_cmp_nlt_f32_e64 s[0:1], s28, v36
	v_cndmask_b32_e64 v53, v52, v47, s[0:1]
	v_add_f32_e32 v36, 1.0, v53
	v_add_f32_e32 v47, -1.0, v36
	v_sub_f32_e32 v48, v47, v36
	v_add_f32_e32 v48, 1.0, v48
	v_sub_f32_e32 v47, v53, v47
	v_add_f32_e32 v47, v47, v48
	v_frexp_mant_f32_e32 v48, v36
	v_cvt_f64_f32_e32 v[54:55], v36
	v_frexp_exp_i32_f64_e32 v54, v[54:55]
	v_cmp_gt_f32_e64 s[0:1], s30, v48
	v_subbrev_co_u32_e64 v48, s[0:1], 0, v54, s[0:1]
	v_sub_u32_e32 v54, 0, v48
	v_ldexp_f32 v36, v36, v54
	v_ldexp_f32 v47, v47, v54
	v_add_f32_e32 v54, -1.0, v36
	v_add_f32_e32 v55, 1.0, v54
	v_sub_f32_e32 v55, v36, v55
	v_add_f32_e32 v56, v47, v55
	v_add_f32_e32 v55, 1.0, v36
	v_add_f32_e32 v57, -1.0, v55
	v_sub_f32_e32 v36, v36, v57
	v_add_f32_e32 v36, v47, v36
	v_add_f32_e32 v47, v55, v36
	v_rcp_f32_e32 v62, v47
	v_sub_f32_e32 v55, v55, v47
	v_add_f32_e32 v36, v36, v55
	v_add_f32_e32 v55, v54, v56
	v_sub_f32_e32 v54, v54, v55
	v_mul_f32_e32 v64, v55, v62
	v_add_f32_e32 v63, v56, v54
	v_mul_f32_e32 v56, v47, v64
	v_fma_f32 v58, v64, v47, -v56
	v_fmac_f32_e32 v58, v64, v36
	v_add_f32_e32 v54, v56, v58
	v_sub_f32_e32 v57, v55, v54
	v_pk_add_f32 v[60:61], v[54:55], v[56:57] neg_lo:[0,1] neg_hi:[0,1]
	v_mov_b32_e32 v59, v54
	v_pk_add_f32 v[54:55], v[60:61], v[58:59] neg_lo:[0,1] neg_hi:[0,1]
	v_add_f32_e32 v55, v63, v55
	v_add_f32_e32 v54, v54, v55
	;; [unrolled: 1-line block ×3, first 2 shown]
	v_mul_f32_e32 v63, v62, v55
	v_mul_f32_e32 v56, v47, v63
	v_fma_f32 v58, v63, v47, -v56
	v_fmac_f32_e32 v58, v63, v36
	v_sub_f32_e32 v36, v57, v55
	v_add_f32_e32 v36, v54, v36
	v_add_f32_e32 v54, v56, v58
	v_sub_f32_e32 v57, v55, v54
	v_pk_add_f32 v[60:61], v[54:55], v[56:57] neg_lo:[0,1] neg_hi:[0,1]
	v_mov_b32_e32 v59, v54
	v_pk_add_f32 v[54:55], v[60:61], v[58:59] neg_lo:[0,1] neg_hi:[0,1]
	v_add_f32_e32 v36, v36, v55
	v_add_f32_e32 v36, v54, v36
	;; [unrolled: 1-line block ×4, first 2 shown]
	v_sub_f32_e32 v47, v55, v64
	v_mul_f32_e32 v36, v62, v36
	v_sub_f32_e32 v47, v63, v47
	v_add_f32_e32 v36, v47, v36
	v_add_f32_e32 v56, v55, v36
	v_cvt_f32_i32_e32 v54, v48
	v_mul_f32_e32 v58, v56, v56
	v_mov_b32_e32 v47, 0x3ecc95a3
	v_fmac_f32_e32 v47, 0x3e9b6dac, v58
	v_fma_f32 v47, v58, v47, v51
	v_sub_f32_e32 v48, v56, v55
	v_mul_f32_e32 v55, v56, v58
	v_pk_mul_f32 v[58:59], v[54:55], v[46:47]
	v_ldexp_f32 v57, v56, 1
	v_fma_f32 v56, v54, s31, -v58
	v_fmac_f32_e32 v56, 0xb102e308, v54
	v_pk_add_f32 v[54:55], v[58:59], v[56:57]
	v_sub_f32_e32 v36, v36, v48
	v_sub_f32_e32 v47, v55, v57
	v_ldexp_f32 v36, v36, 1
	v_sub_f32_e32 v47, v59, v47
	v_add_f32_e32 v61, v36, v47
	v_mov_b32_e32 v60, v58
	v_pk_add_f32 v[58:59], v[54:55], v[58:59] neg_lo:[0,1] neg_hi:[0,1]
	v_pk_add_f32 v[62:63], v[54:55], v[60:61]
	v_mov_b32_e32 v59, v63
	v_mov_b32_e32 v57, v54
	v_pk_add_f32 v[64:65], v[56:57], v[58:59] neg_lo:[0,1] neg_hi:[0,1]
	v_pk_add_f32 v[56:57], v[56:57], v[58:59]
	v_mov_b32_e32 v36, v57
	v_pk_add_f32 v[58:59], v[36:37], v[54:55] neg_lo:[0,1] neg_hi:[0,1]
	v_mov_b32_e32 v47, v58
	v_pk_add_f32 v[66:67], v[62:63], v[46:47] neg_lo:[0,1] neg_hi:[0,1]
	v_mov_b32_e32 v56, v63
	v_mov_b32_e32 v62, v55
	;; [unrolled: 1-line block ×4, first 2 shown]
	v_pk_add_f32 v[56:57], v[56:57], v[62:63] neg_lo:[0,1] neg_hi:[0,1]
	v_mov_b32_e32 v58, v61
	v_mov_b32_e32 v59, v54
	v_pk_add_f32 v[54:55], v[58:59], v[56:57] neg_lo:[0,1] neg_hi:[0,1]
	v_mov_b32_e32 v66, v64
	v_pk_add_f32 v[56:57], v[66:67], v[54:55]
	v_mov_b32_e32 v48, v57
	v_pk_add_f32 v[58:59], v[56:57], v[48:49]
	v_pk_add_f32 v[60:61], v[36:37], v[58:59]
	v_mov_b32_e32 v57, v60
	v_pk_add_f32 v[62:63], v[56:57], v[64:65] neg_lo:[0,1] neg_hi:[0,1]
	v_mov_b32_e32 v55, v58
	v_sub_f32_e32 v36, v56, v62
	v_pk_add_f32 v[54:55], v[54:55], v[62:63] neg_lo:[0,1] neg_hi:[0,1]
	v_sub_f32_e32 v36, v64, v36
	v_add_f32_e32 v36, v54, v36
	v_add_f32_e32 v36, v36, v55
	v_cmp_eq_f32_e64 s[0:1], s29, v53
	v_cmp_gt_f32_e64 s[2:3], s34, v53
	v_add_f32_e32 v36, v60, v36
	s_or_b64 s[0:1], s[2:3], s[0:1]
	v_cndmask_b32_e64 v36, v36, v53, s[0:1]
	s_branch .LBB10_2
.LBB10_7:
	s_add_u32 s0, s22, s36
	s_addc_u32 s1, s23, s37
	s_mul_i32 s2, s6, s25
	s_add_u32 s0, s0, s2
	s_addc_u32 s1, s1, 0
	s_add_u32 s0, s0, s33
	s_addc_u32 s1, s1, s7
	v_mov_b32_e32 v1, s1
	v_add_co_u32_e32 v0, vcc, s0, v34
	v_addc_co_u32_e32 v1, vcc, v1, v35, vcc
	s_waitcnt vmcnt(3)
	global_store_dwordx4 v[0:1], v[14:17], off
	s_waitcnt vmcnt(3)
	global_store_dwordx4 v[0:1], v[10:13], off offset:16
	s_waitcnt vmcnt(3)
	global_store_dwordx4 v[0:1], v[6:9], off offset:32
	;; [unrolled: 2-line block ×3, first 2 shown]
	s_endpgm
	.section	.rodata,"a",@progbits
	.p2align	6, 0x0
	.amdhsa_kernel _Z12ssm_scan_f32ILm128ELm16ELm0EEvPKfS1_S1_S1_S1_S1_PKiPfiiiiiiiiiiilll
		.amdhsa_group_segment_fixed_size 128
		.amdhsa_private_segment_fixed_size 0
		.amdhsa_kernarg_size 136
		.amdhsa_user_sgpr_count 6
		.amdhsa_user_sgpr_private_segment_buffer 1
		.amdhsa_user_sgpr_dispatch_ptr 0
		.amdhsa_user_sgpr_queue_ptr 0
		.amdhsa_user_sgpr_kernarg_segment_ptr 1
		.amdhsa_user_sgpr_dispatch_id 0
		.amdhsa_user_sgpr_flat_scratch_init 0
		.amdhsa_user_sgpr_kernarg_preload_length 0
		.amdhsa_user_sgpr_kernarg_preload_offset 0
		.amdhsa_user_sgpr_private_segment_size 0
		.amdhsa_uses_dynamic_stack 0
		.amdhsa_system_sgpr_private_segment_wavefront_offset 0
		.amdhsa_system_sgpr_workgroup_id_x 1
		.amdhsa_system_sgpr_workgroup_id_y 1
		.amdhsa_system_sgpr_workgroup_id_z 0
		.amdhsa_system_sgpr_workgroup_info 0
		.amdhsa_system_vgpr_workitem_id 0
		.amdhsa_next_free_vgpr 68
		.amdhsa_next_free_sgpr 40
		.amdhsa_accum_offset 68
		.amdhsa_reserve_vcc 1
		.amdhsa_reserve_flat_scratch 0
		.amdhsa_float_round_mode_32 0
		.amdhsa_float_round_mode_16_64 0
		.amdhsa_float_denorm_mode_32 3
		.amdhsa_float_denorm_mode_16_64 3
		.amdhsa_dx10_clamp 1
		.amdhsa_ieee_mode 1
		.amdhsa_fp16_overflow 0
		.amdhsa_tg_split 0
		.amdhsa_exception_fp_ieee_invalid_op 0
		.amdhsa_exception_fp_denorm_src 0
		.amdhsa_exception_fp_ieee_div_zero 0
		.amdhsa_exception_fp_ieee_overflow 0
		.amdhsa_exception_fp_ieee_underflow 0
		.amdhsa_exception_fp_ieee_inexact 0
		.amdhsa_exception_int_div_zero 0
	.end_amdhsa_kernel
	.section	.text._Z12ssm_scan_f32ILm128ELm16ELm0EEvPKfS1_S1_S1_S1_S1_PKiPfiiiiiiiiiiilll,"axG",@progbits,_Z12ssm_scan_f32ILm128ELm16ELm0EEvPKfS1_S1_S1_S1_S1_PKiPfiiiiiiiiiiilll,comdat
.Lfunc_end10:
	.size	_Z12ssm_scan_f32ILm128ELm16ELm0EEvPKfS1_S1_S1_S1_S1_PKiPfiiiiiiiiiiilll, .Lfunc_end10-_Z12ssm_scan_f32ILm128ELm16ELm0EEvPKfS1_S1_S1_S1_S1_PKiPfiiiiiiiiiiilll
                                        ; -- End function
	.section	.AMDGPU.csdata,"",@progbits
; Kernel info:
; codeLenInByte = 3480
; NumSgprs: 44
; NumVgprs: 68
; NumAgprs: 0
; TotalNumVgprs: 68
; ScratchSize: 0
; MemoryBound: 0
; FloatMode: 240
; IeeeMode: 1
; LDSByteSize: 128 bytes/workgroup (compile time only)
; SGPRBlocks: 5
; VGPRBlocks: 8
; NumSGPRsForWavesPerEU: 44
; NumVGPRsForWavesPerEU: 68
; AccumOffset: 68
; Occupancy: 7
; WaveLimiterHint : 1
; COMPUTE_PGM_RSRC2:SCRATCH_EN: 0
; COMPUTE_PGM_RSRC2:USER_SGPR: 6
; COMPUTE_PGM_RSRC2:TRAP_HANDLER: 0
; COMPUTE_PGM_RSRC2:TGID_X_EN: 1
; COMPUTE_PGM_RSRC2:TGID_Y_EN: 1
; COMPUTE_PGM_RSRC2:TGID_Z_EN: 0
; COMPUTE_PGM_RSRC2:TIDIG_COMP_CNT: 0
; COMPUTE_PGM_RSRC3_GFX90A:ACCUM_OFFSET: 16
; COMPUTE_PGM_RSRC3_GFX90A:TG_SPLIT: 0
	.text
	.p2alignl 6, 3212836864
	.fill 256, 4, 3212836864
	.type	__hip_cuid_14eb32a15bb874a0,@object ; @__hip_cuid_14eb32a15bb874a0
	.section	.bss,"aw",@nobits
	.globl	__hip_cuid_14eb32a15bb874a0
__hip_cuid_14eb32a15bb874a0:
	.byte	0                               ; 0x0
	.size	__hip_cuid_14eb32a15bb874a0, 1

	.ident	"AMD clang version 19.0.0git (https://github.com/RadeonOpenCompute/llvm-project roc-6.4.0 25133 c7fe45cf4b819c5991fe208aaa96edf142730f1d)"
	.section	".note.GNU-stack","",@progbits
	.addrsig
	.addrsig_sym __hip_cuid_14eb32a15bb874a0
	.amdgpu_metadata
---
amdhsa.kernels:
  - .agpr_count:     0
    .args:
      - .address_space:  global
        .offset:         0
        .size:           8
        .value_kind:     global_buffer
      - .address_space:  global
        .offset:         8
        .size:           8
        .value_kind:     global_buffer
      - .address_space:  global
        .offset:         16
        .size:           8
        .value_kind:     global_buffer
      - .address_space:  global
        .offset:         24
        .size:           8
        .value_kind:     global_buffer
      - .address_space:  global
        .offset:         32
        .size:           8
        .value_kind:     global_buffer
      - .address_space:  global
        .offset:         40
        .size:           8
        .value_kind:     global_buffer
      - .address_space:  global
        .offset:         48
        .size:           8
        .value_kind:     global_buffer
      - .address_space:  global
        .offset:         56
        .size:           8
        .value_kind:     global_buffer
      - .offset:         64
        .size:           4
        .value_kind:     by_value
      - .offset:         68
        .size:           4
        .value_kind:     by_value
      - .offset:         72
        .size:           4
        .value_kind:     by_value
      - .offset:         76
        .size:           4
        .value_kind:     by_value
      - .offset:         80
        .size:           4
        .value_kind:     by_value
      - .offset:         84
        .size:           4
        .value_kind:     by_value
      - .offset:         88
        .size:           4
        .value_kind:     by_value
      - .offset:         92
        .size:           4
        .value_kind:     by_value
      - .offset:         96
        .size:           4
        .value_kind:     by_value
      - .offset:         100
        .size:           4
        .value_kind:     by_value
      - .offset:         104
        .size:           4
        .value_kind:     by_value
      - .offset:         112
        .size:           8
        .value_kind:     by_value
      - .offset:         120
        .size:           8
        .value_kind:     by_value
      - .offset:         128
        .size:           8
        .value_kind:     by_value
      - .offset:         136
        .size:           8
        .value_kind:     by_value
      - .offset:         144
        .size:           8
        .value_kind:     by_value
    .group_segment_fixed_size: 0
    .kernarg_segment_align: 8
    .kernarg_segment_size: 152
    .language:       OpenCL C
    .language_version:
      - 2
      - 0
    .max_flat_workgroup_size: 128
    .name:           _Z18ssm_scan_f32_groupILi4ELi128EEvPKfS1_S1_S1_S1_S1_PKiPfiiiiiiiiiiilllll
    .private_segment_fixed_size: 0
    .sgpr_count:     54
    .sgpr_spill_count: 0
    .symbol:         _Z18ssm_scan_f32_groupILi4ELi128EEvPKfS1_S1_S1_S1_S1_PKiPfiiiiiiiiiiilllll.kd
    .uniform_work_group_size: 1
    .uses_dynamic_stack: false
    .vgpr_count:     49
    .vgpr_spill_count: 0
    .wavefront_size: 64
  - .agpr_count:     0
    .args:
      - .address_space:  global
        .offset:         0
        .size:           8
        .value_kind:     global_buffer
      - .address_space:  global
        .offset:         8
        .size:           8
        .value_kind:     global_buffer
      - .address_space:  global
        .offset:         16
        .size:           8
        .value_kind:     global_buffer
      - .address_space:  global
        .offset:         24
        .size:           8
        .value_kind:     global_buffer
      - .address_space:  global
        .offset:         32
        .size:           8
        .value_kind:     global_buffer
      - .address_space:  global
        .offset:         40
        .size:           8
        .value_kind:     global_buffer
      - .address_space:  global
        .offset:         48
        .size:           8
        .value_kind:     global_buffer
      - .address_space:  global
        .offset:         56
        .size:           8
        .value_kind:     global_buffer
      - .offset:         64
        .size:           4
        .value_kind:     by_value
      - .offset:         68
        .size:           4
        .value_kind:     by_value
      - .offset:         72
        .size:           4
        .value_kind:     by_value
      - .offset:         76
        .size:           4
        .value_kind:     by_value
      - .offset:         80
        .size:           4
        .value_kind:     by_value
      - .offset:         84
        .size:           4
        .value_kind:     by_value
      - .offset:         88
        .size:           4
        .value_kind:     by_value
      - .offset:         92
        .size:           4
        .value_kind:     by_value
      - .offset:         96
        .size:           4
        .value_kind:     by_value
      - .offset:         100
        .size:           4
        .value_kind:     by_value
      - .offset:         104
        .size:           4
        .value_kind:     by_value
      - .offset:         112
        .size:           8
        .value_kind:     by_value
      - .offset:         120
        .size:           8
        .value_kind:     by_value
      - .offset:         128
        .size:           8
        .value_kind:     by_value
      - .offset:         136
        .size:           8
        .value_kind:     by_value
      - .offset:         144
        .size:           8
        .value_kind:     by_value
    .group_segment_fixed_size: 0
    .kernarg_segment_align: 8
    .kernarg_segment_size: 152
    .language:       OpenCL C
    .language_version:
      - 2
      - 0
    .max_flat_workgroup_size: 256
    .name:           _Z18ssm_scan_f32_groupILi8ELi256EEvPKfS1_S1_S1_S1_S1_PKiPfiiiiiiiiiiilllll
    .private_segment_fixed_size: 0
    .sgpr_count:     54
    .sgpr_spill_count: 0
    .symbol:         _Z18ssm_scan_f32_groupILi8ELi256EEvPKfS1_S1_S1_S1_S1_PKiPfiiiiiiiiiiilllll.kd
    .uniform_work_group_size: 1
    .uses_dynamic_stack: false
    .vgpr_count:     58
    .vgpr_spill_count: 0
    .wavefront_size: 64
  - .agpr_count:     0
    .args:
      - .address_space:  global
        .offset:         0
        .size:           8
        .value_kind:     global_buffer
      - .address_space:  global
        .offset:         8
        .size:           8
        .value_kind:     global_buffer
      - .address_space:  global
        .offset:         16
        .size:           8
        .value_kind:     global_buffer
      - .address_space:  global
        .offset:         24
        .size:           8
        .value_kind:     global_buffer
      - .address_space:  global
        .offset:         32
        .size:           8
        .value_kind:     global_buffer
      - .address_space:  global
        .offset:         40
        .size:           8
        .value_kind:     global_buffer
      - .address_space:  global
        .offset:         48
        .size:           8
        .value_kind:     global_buffer
      - .address_space:  global
        .offset:         56
        .size:           8
        .value_kind:     global_buffer
      - .offset:         64
        .size:           4
        .value_kind:     by_value
      - .offset:         68
        .size:           4
        .value_kind:     by_value
      - .offset:         72
        .size:           4
        .value_kind:     by_value
      - .offset:         76
        .size:           4
        .value_kind:     by_value
      - .offset:         80
        .size:           4
        .value_kind:     by_value
      - .offset:         84
        .size:           4
        .value_kind:     by_value
      - .offset:         88
        .size:           4
        .value_kind:     by_value
      - .offset:         92
        .size:           4
        .value_kind:     by_value
      - .offset:         96
        .size:           4
        .value_kind:     by_value
      - .offset:         100
        .size:           4
        .value_kind:     by_value
      - .offset:         104
        .size:           4
        .value_kind:     by_value
      - .offset:         112
        .size:           8
        .value_kind:     by_value
      - .offset:         120
        .size:           8
        .value_kind:     by_value
      - .offset:         128
        .size:           8
        .value_kind:     by_value
    .group_segment_fixed_size: 128
    .kernarg_segment_align: 8
    .kernarg_segment_size: 136
    .language:       OpenCL C
    .language_version:
      - 2
      - 0
    .max_flat_workgroup_size: 128
    .name:           _Z12ssm_scan_f32ILm128ELm16ELm1EEvPKfS1_S1_S1_S1_S1_PKiPfiiiiiiiiiiilll
    .private_segment_fixed_size: 0
    .sgpr_count:     33
    .sgpr_spill_count: 0
    .symbol:         _Z12ssm_scan_f32ILm128ELm16ELm1EEvPKfS1_S1_S1_S1_S1_PKiPfiiiiiiiiiiilll.kd
    .uniform_work_group_size: 1
    .uses_dynamic_stack: false
    .vgpr_count:     61
    .vgpr_spill_count: 0
    .wavefront_size: 64
  - .agpr_count:     0
    .args:
      - .address_space:  global
        .offset:         0
        .size:           8
        .value_kind:     global_buffer
      - .address_space:  global
        .offset:         8
        .size:           8
        .value_kind:     global_buffer
      - .address_space:  global
        .offset:         16
        .size:           8
        .value_kind:     global_buffer
      - .address_space:  global
        .offset:         24
        .size:           8
        .value_kind:     global_buffer
      - .address_space:  global
        .offset:         32
        .size:           8
        .value_kind:     global_buffer
      - .address_space:  global
        .offset:         40
        .size:           8
        .value_kind:     global_buffer
      - .address_space:  global
        .offset:         48
        .size:           8
        .value_kind:     global_buffer
      - .address_space:  global
        .offset:         56
        .size:           8
        .value_kind:     global_buffer
      - .offset:         64
        .size:           4
        .value_kind:     by_value
      - .offset:         68
        .size:           4
        .value_kind:     by_value
      - .offset:         72
        .size:           4
        .value_kind:     by_value
      - .offset:         76
        .size:           4
        .value_kind:     by_value
      - .offset:         80
        .size:           4
        .value_kind:     by_value
      - .offset:         84
        .size:           4
        .value_kind:     by_value
      - .offset:         88
        .size:           4
        .value_kind:     by_value
      - .offset:         92
        .size:           4
        .value_kind:     by_value
      - .offset:         96
        .size:           4
        .value_kind:     by_value
      - .offset:         100
        .size:           4
        .value_kind:     by_value
      - .offset:         104
        .size:           4
        .value_kind:     by_value
      - .offset:         112
        .size:           8
        .value_kind:     by_value
      - .offset:         120
        .size:           8
        .value_kind:     by_value
      - .offset:         128
        .size:           8
        .value_kind:     by_value
    .group_segment_fixed_size: 128
    .kernarg_segment_align: 8
    .kernarg_segment_size: 136
    .language:       OpenCL C
    .language_version:
      - 2
      - 0
    .max_flat_workgroup_size: 128
    .name:           _Z12ssm_scan_f32ILm128ELm16ELm2EEvPKfS1_S1_S1_S1_S1_PKiPfiiiiiiiiiiilll
    .private_segment_fixed_size: 0
    .sgpr_count:     48
    .sgpr_spill_count: 0
    .symbol:         _Z12ssm_scan_f32ILm128ELm16ELm2EEvPKfS1_S1_S1_S1_S1_PKiPfiiiiiiiiiiilll.kd
    .uniform_work_group_size: 1
    .uses_dynamic_stack: false
    .vgpr_count:     62
    .vgpr_spill_count: 0
    .wavefront_size: 64
  - .agpr_count:     0
    .args:
      - .address_space:  global
        .offset:         0
        .size:           8
        .value_kind:     global_buffer
      - .address_space:  global
        .offset:         8
        .size:           8
        .value_kind:     global_buffer
      - .address_space:  global
        .offset:         16
        .size:           8
        .value_kind:     global_buffer
      - .address_space:  global
        .offset:         24
        .size:           8
        .value_kind:     global_buffer
      - .address_space:  global
        .offset:         32
        .size:           8
        .value_kind:     global_buffer
      - .address_space:  global
        .offset:         40
        .size:           8
        .value_kind:     global_buffer
      - .address_space:  global
        .offset:         48
        .size:           8
        .value_kind:     global_buffer
      - .address_space:  global
        .offset:         56
        .size:           8
        .value_kind:     global_buffer
      - .offset:         64
        .size:           4
        .value_kind:     by_value
      - .offset:         68
        .size:           4
        .value_kind:     by_value
      - .offset:         72
        .size:           4
        .value_kind:     by_value
      - .offset:         76
        .size:           4
        .value_kind:     by_value
      - .offset:         80
        .size:           4
        .value_kind:     by_value
      - .offset:         84
        .size:           4
        .value_kind:     by_value
      - .offset:         88
        .size:           4
        .value_kind:     by_value
      - .offset:         92
        .size:           4
        .value_kind:     by_value
      - .offset:         96
        .size:           4
        .value_kind:     by_value
      - .offset:         100
        .size:           4
        .value_kind:     by_value
      - .offset:         104
        .size:           4
        .value_kind:     by_value
      - .offset:         112
        .size:           8
        .value_kind:     by_value
      - .offset:         120
        .size:           8
        .value_kind:     by_value
      - .offset:         128
        .size:           8
        .value_kind:     by_value
    .group_segment_fixed_size: 128
    .kernarg_segment_align: 8
    .kernarg_segment_size: 136
    .language:       OpenCL C
    .language_version:
      - 2
      - 0
    .max_flat_workgroup_size: 128
    .name:           _Z12ssm_scan_f32ILm128ELm16ELm3EEvPKfS1_S1_S1_S1_S1_PKiPfiiiiiiiiiiilll
    .private_segment_fixed_size: 0
    .sgpr_count:     44
    .sgpr_spill_count: 0
    .symbol:         _Z12ssm_scan_f32ILm128ELm16ELm3EEvPKfS1_S1_S1_S1_S1_PKiPfiiiiiiiiiiilll.kd
    .uniform_work_group_size: 1
    .uses_dynamic_stack: false
    .vgpr_count:     79
    .vgpr_spill_count: 0
    .wavefront_size: 64
  - .agpr_count:     0
    .args:
      - .address_space:  global
        .offset:         0
        .size:           8
        .value_kind:     global_buffer
      - .address_space:  global
        .offset:         8
        .size:           8
        .value_kind:     global_buffer
      - .address_space:  global
        .offset:         16
        .size:           8
        .value_kind:     global_buffer
      - .address_space:  global
        .offset:         24
        .size:           8
        .value_kind:     global_buffer
      - .address_space:  global
        .offset:         32
        .size:           8
        .value_kind:     global_buffer
      - .address_space:  global
        .offset:         40
        .size:           8
        .value_kind:     global_buffer
      - .address_space:  global
        .offset:         48
        .size:           8
        .value_kind:     global_buffer
      - .address_space:  global
        .offset:         56
        .size:           8
        .value_kind:     global_buffer
      - .offset:         64
        .size:           4
        .value_kind:     by_value
      - .offset:         68
        .size:           4
        .value_kind:     by_value
      - .offset:         72
        .size:           4
        .value_kind:     by_value
      - .offset:         76
        .size:           4
        .value_kind:     by_value
      - .offset:         80
        .size:           4
        .value_kind:     by_value
      - .offset:         84
        .size:           4
        .value_kind:     by_value
      - .offset:         88
        .size:           4
        .value_kind:     by_value
      - .offset:         92
        .size:           4
        .value_kind:     by_value
      - .offset:         96
        .size:           4
        .value_kind:     by_value
      - .offset:         100
        .size:           4
        .value_kind:     by_value
      - .offset:         104
        .size:           4
        .value_kind:     by_value
      - .offset:         112
        .size:           8
        .value_kind:     by_value
      - .offset:         120
        .size:           8
        .value_kind:     by_value
      - .offset:         128
        .size:           8
        .value_kind:     by_value
    .group_segment_fixed_size: 128
    .kernarg_segment_align: 8
    .kernarg_segment_size: 136
    .language:       OpenCL C
    .language_version:
      - 2
      - 0
    .max_flat_workgroup_size: 128
    .name:           _Z12ssm_scan_f32ILm128ELm16ELm4EEvPKfS1_S1_S1_S1_S1_PKiPfiiiiiiiiiiilll
    .private_segment_fixed_size: 0
    .sgpr_count:     44
    .sgpr_spill_count: 0
    .symbol:         _Z12ssm_scan_f32ILm128ELm16ELm4EEvPKfS1_S1_S1_S1_S1_PKiPfiiiiiiiiiiilll.kd
    .uniform_work_group_size: 1
    .uses_dynamic_stack: false
    .vgpr_count:     95
    .vgpr_spill_count: 0
    .wavefront_size: 64
  - .agpr_count:     0
    .args:
      - .address_space:  global
        .offset:         0
        .size:           8
        .value_kind:     global_buffer
      - .address_space:  global
        .offset:         8
        .size:           8
        .value_kind:     global_buffer
      - .address_space:  global
        .offset:         16
        .size:           8
        .value_kind:     global_buffer
      - .address_space:  global
        .offset:         24
        .size:           8
        .value_kind:     global_buffer
      - .address_space:  global
        .offset:         32
        .size:           8
        .value_kind:     global_buffer
      - .address_space:  global
        .offset:         40
        .size:           8
        .value_kind:     global_buffer
      - .address_space:  global
        .offset:         48
        .size:           8
        .value_kind:     global_buffer
      - .address_space:  global
        .offset:         56
        .size:           8
        .value_kind:     global_buffer
      - .offset:         64
        .size:           4
        .value_kind:     by_value
      - .offset:         68
        .size:           4
        .value_kind:     by_value
      - .offset:         72
        .size:           4
        .value_kind:     by_value
      - .offset:         76
        .size:           4
        .value_kind:     by_value
      - .offset:         80
        .size:           4
        .value_kind:     by_value
      - .offset:         84
        .size:           4
        .value_kind:     by_value
      - .offset:         88
        .size:           4
        .value_kind:     by_value
      - .offset:         92
        .size:           4
        .value_kind:     by_value
      - .offset:         96
        .size:           4
        .value_kind:     by_value
      - .offset:         100
        .size:           4
        .value_kind:     by_value
      - .offset:         104
        .size:           4
        .value_kind:     by_value
      - .offset:         112
        .size:           8
        .value_kind:     by_value
      - .offset:         120
        .size:           8
        .value_kind:     by_value
      - .offset:         128
        .size:           8
        .value_kind:     by_value
    .group_segment_fixed_size: 128
    .kernarg_segment_align: 8
    .kernarg_segment_size: 136
    .language:       OpenCL C
    .language_version:
      - 2
      - 0
    .max_flat_workgroup_size: 128
    .name:           _Z12ssm_scan_f32ILm128ELm16ELm5EEvPKfS1_S1_S1_S1_S1_PKiPfiiiiiiiiiiilll
    .private_segment_fixed_size: 0
    .sgpr_count:     44
    .sgpr_spill_count: 0
    .symbol:         _Z12ssm_scan_f32ILm128ELm16ELm5EEvPKfS1_S1_S1_S1_S1_PKiPfiiiiiiiiiiilll.kd
    .uniform_work_group_size: 1
    .uses_dynamic_stack: false
    .vgpr_count:     95
    .vgpr_spill_count: 0
    .wavefront_size: 64
  - .agpr_count:     0
    .args:
      - .address_space:  global
        .offset:         0
        .size:           8
        .value_kind:     global_buffer
      - .address_space:  global
        .offset:         8
        .size:           8
        .value_kind:     global_buffer
      - .address_space:  global
        .offset:         16
        .size:           8
        .value_kind:     global_buffer
      - .address_space:  global
        .offset:         24
        .size:           8
        .value_kind:     global_buffer
      - .address_space:  global
        .offset:         32
        .size:           8
        .value_kind:     global_buffer
      - .address_space:  global
        .offset:         40
        .size:           8
        .value_kind:     global_buffer
      - .address_space:  global
        .offset:         48
        .size:           8
        .value_kind:     global_buffer
      - .address_space:  global
        .offset:         56
        .size:           8
        .value_kind:     global_buffer
      - .offset:         64
        .size:           4
        .value_kind:     by_value
      - .offset:         68
        .size:           4
        .value_kind:     by_value
      - .offset:         72
        .size:           4
        .value_kind:     by_value
      - .offset:         76
        .size:           4
        .value_kind:     by_value
      - .offset:         80
        .size:           4
        .value_kind:     by_value
      - .offset:         84
        .size:           4
        .value_kind:     by_value
      - .offset:         88
        .size:           4
        .value_kind:     by_value
      - .offset:         92
        .size:           4
        .value_kind:     by_value
      - .offset:         96
        .size:           4
        .value_kind:     by_value
      - .offset:         100
        .size:           4
        .value_kind:     by_value
      - .offset:         104
        .size:           4
        .value_kind:     by_value
      - .offset:         112
        .size:           8
        .value_kind:     by_value
      - .offset:         120
        .size:           8
        .value_kind:     by_value
      - .offset:         128
        .size:           8
        .value_kind:     by_value
    .group_segment_fixed_size: 128
    .kernarg_segment_align: 8
    .kernarg_segment_size: 136
    .language:       OpenCL C
    .language_version:
      - 2
      - 0
    .max_flat_workgroup_size: 128
    .name:           _Z12ssm_scan_f32ILm128ELm16ELm6EEvPKfS1_S1_S1_S1_S1_PKiPfiiiiiiiiiiilll
    .private_segment_fixed_size: 0
    .sgpr_count:     44
    .sgpr_spill_count: 0
    .symbol:         _Z12ssm_scan_f32ILm128ELm16ELm6EEvPKfS1_S1_S1_S1_S1_PKiPfiiiiiiiiiiilll.kd
    .uniform_work_group_size: 1
    .uses_dynamic_stack: false
    .vgpr_count:     95
    .vgpr_spill_count: 0
    .wavefront_size: 64
  - .agpr_count:     0
    .args:
      - .address_space:  global
        .offset:         0
        .size:           8
        .value_kind:     global_buffer
      - .address_space:  global
        .offset:         8
        .size:           8
        .value_kind:     global_buffer
      - .address_space:  global
        .offset:         16
        .size:           8
        .value_kind:     global_buffer
      - .address_space:  global
        .offset:         24
        .size:           8
        .value_kind:     global_buffer
      - .address_space:  global
        .offset:         32
        .size:           8
        .value_kind:     global_buffer
      - .address_space:  global
        .offset:         40
        .size:           8
        .value_kind:     global_buffer
      - .address_space:  global
        .offset:         48
        .size:           8
        .value_kind:     global_buffer
      - .address_space:  global
        .offset:         56
        .size:           8
        .value_kind:     global_buffer
      - .offset:         64
        .size:           4
        .value_kind:     by_value
      - .offset:         68
        .size:           4
        .value_kind:     by_value
      - .offset:         72
        .size:           4
        .value_kind:     by_value
      - .offset:         76
        .size:           4
        .value_kind:     by_value
      - .offset:         80
        .size:           4
        .value_kind:     by_value
      - .offset:         84
        .size:           4
        .value_kind:     by_value
      - .offset:         88
        .size:           4
        .value_kind:     by_value
      - .offset:         92
        .size:           4
        .value_kind:     by_value
      - .offset:         96
        .size:           4
        .value_kind:     by_value
      - .offset:         100
        .size:           4
        .value_kind:     by_value
      - .offset:         104
        .size:           4
        .value_kind:     by_value
      - .offset:         112
        .size:           8
        .value_kind:     by_value
      - .offset:         120
        .size:           8
        .value_kind:     by_value
      - .offset:         128
        .size:           8
        .value_kind:     by_value
    .group_segment_fixed_size: 128
    .kernarg_segment_align: 8
    .kernarg_segment_size: 136
    .language:       OpenCL C
    .language_version:
      - 2
      - 0
    .max_flat_workgroup_size: 128
    .name:           _Z12ssm_scan_f32ILm128ELm16ELm7EEvPKfS1_S1_S1_S1_S1_PKiPfiiiiiiiiiiilll
    .private_segment_fixed_size: 0
    .sgpr_count:     44
    .sgpr_spill_count: 0
    .symbol:         _Z12ssm_scan_f32ILm128ELm16ELm7EEvPKfS1_S1_S1_S1_S1_PKiPfiiiiiiiiiiilll.kd
    .uniform_work_group_size: 1
    .uses_dynamic_stack: false
    .vgpr_count:     95
    .vgpr_spill_count: 0
    .wavefront_size: 64
  - .agpr_count:     0
    .args:
      - .address_space:  global
        .offset:         0
        .size:           8
        .value_kind:     global_buffer
      - .address_space:  global
        .offset:         8
        .size:           8
        .value_kind:     global_buffer
      - .address_space:  global
        .offset:         16
        .size:           8
        .value_kind:     global_buffer
      - .address_space:  global
        .offset:         24
        .size:           8
        .value_kind:     global_buffer
      - .address_space:  global
        .offset:         32
        .size:           8
        .value_kind:     global_buffer
      - .address_space:  global
        .offset:         40
        .size:           8
        .value_kind:     global_buffer
      - .address_space:  global
        .offset:         48
        .size:           8
        .value_kind:     global_buffer
      - .address_space:  global
        .offset:         56
        .size:           8
        .value_kind:     global_buffer
      - .offset:         64
        .size:           4
        .value_kind:     by_value
      - .offset:         68
        .size:           4
        .value_kind:     by_value
      - .offset:         72
        .size:           4
        .value_kind:     by_value
      - .offset:         76
        .size:           4
        .value_kind:     by_value
      - .offset:         80
        .size:           4
        .value_kind:     by_value
      - .offset:         84
        .size:           4
        .value_kind:     by_value
      - .offset:         88
        .size:           4
        .value_kind:     by_value
      - .offset:         92
        .size:           4
        .value_kind:     by_value
      - .offset:         96
        .size:           4
        .value_kind:     by_value
      - .offset:         100
        .size:           4
        .value_kind:     by_value
      - .offset:         104
        .size:           4
        .value_kind:     by_value
      - .offset:         112
        .size:           8
        .value_kind:     by_value
      - .offset:         120
        .size:           8
        .value_kind:     by_value
      - .offset:         128
        .size:           8
        .value_kind:     by_value
    .group_segment_fixed_size: 128
    .kernarg_segment_align: 8
    .kernarg_segment_size: 136
    .language:       OpenCL C
    .language_version:
      - 2
      - 0
    .max_flat_workgroup_size: 128
    .name:           _Z12ssm_scan_f32ILm128ELm16ELm8EEvPKfS1_S1_S1_S1_S1_PKiPfiiiiiiiiiiilll
    .private_segment_fixed_size: 0
    .sgpr_count:     44
    .sgpr_spill_count: 0
    .symbol:         _Z12ssm_scan_f32ILm128ELm16ELm8EEvPKfS1_S1_S1_S1_S1_PKiPfiiiiiiiiiiilll.kd
    .uniform_work_group_size: 1
    .uses_dynamic_stack: false
    .vgpr_count:     95
    .vgpr_spill_count: 0
    .wavefront_size: 64
  - .agpr_count:     0
    .args:
      - .address_space:  global
        .offset:         0
        .size:           8
        .value_kind:     global_buffer
      - .address_space:  global
        .offset:         8
        .size:           8
        .value_kind:     global_buffer
      - .address_space:  global
        .offset:         16
        .size:           8
        .value_kind:     global_buffer
      - .address_space:  global
        .offset:         24
        .size:           8
        .value_kind:     global_buffer
      - .address_space:  global
        .offset:         32
        .size:           8
        .value_kind:     global_buffer
      - .address_space:  global
        .offset:         40
        .size:           8
        .value_kind:     global_buffer
      - .address_space:  global
        .offset:         48
        .size:           8
        .value_kind:     global_buffer
      - .address_space:  global
        .offset:         56
        .size:           8
        .value_kind:     global_buffer
      - .offset:         64
        .size:           4
        .value_kind:     by_value
      - .offset:         68
        .size:           4
        .value_kind:     by_value
      - .offset:         72
        .size:           4
        .value_kind:     by_value
      - .offset:         76
        .size:           4
        .value_kind:     by_value
      - .offset:         80
        .size:           4
        .value_kind:     by_value
      - .offset:         84
        .size:           4
        .value_kind:     by_value
      - .offset:         88
        .size:           4
        .value_kind:     by_value
      - .offset:         92
        .size:           4
        .value_kind:     by_value
      - .offset:         96
        .size:           4
        .value_kind:     by_value
      - .offset:         100
        .size:           4
        .value_kind:     by_value
      - .offset:         104
        .size:           4
        .value_kind:     by_value
      - .offset:         112
        .size:           8
        .value_kind:     by_value
      - .offset:         120
        .size:           8
        .value_kind:     by_value
      - .offset:         128
        .size:           8
        .value_kind:     by_value
    .group_segment_fixed_size: 128
    .kernarg_segment_align: 8
    .kernarg_segment_size: 136
    .language:       OpenCL C
    .language_version:
      - 2
      - 0
    .max_flat_workgroup_size: 128
    .name:           _Z12ssm_scan_f32ILm128ELm16ELm0EEvPKfS1_S1_S1_S1_S1_PKiPfiiiiiiiiiiilll
    .private_segment_fixed_size: 0
    .sgpr_count:     44
    .sgpr_spill_count: 0
    .symbol:         _Z12ssm_scan_f32ILm128ELm16ELm0EEvPKfS1_S1_S1_S1_S1_PKiPfiiiiiiiiiiilll.kd
    .uniform_work_group_size: 1
    .uses_dynamic_stack: false
    .vgpr_count:     68
    .vgpr_spill_count: 0
    .wavefront_size: 64
amdhsa.target:   amdgcn-amd-amdhsa--gfx90a
amdhsa.version:
  - 1
  - 2
...

	.end_amdgpu_metadata
